;; amdgpu-corpus repo=ROCm/rocFFT kind=compiled arch=gfx1201 opt=O3
	.text
	.amdgcn_target "amdgcn-amd-amdhsa--gfx1201"
	.amdhsa_code_object_version 6
	.protected	bluestein_single_back_len1260_dim1_half_op_CI_CI ; -- Begin function bluestein_single_back_len1260_dim1_half_op_CI_CI
	.globl	bluestein_single_back_len1260_dim1_half_op_CI_CI
	.p2align	8
	.type	bluestein_single_back_len1260_dim1_half_op_CI_CI,@function
bluestein_single_back_len1260_dim1_half_op_CI_CI: ; @bluestein_single_back_len1260_dim1_half_op_CI_CI
; %bb.0:
	s_load_b128 s[12:15], s[0:1], 0x28
	v_mul_u32_u24_e32 v1, 0x411, v0
	s_mov_b32 s2, exec_lo
	v_mov_b32_e32 v29, 0
	s_delay_alu instid0(VALU_DEP_2) | instskip(NEXT) | instid1(VALU_DEP_1)
	v_lshrrev_b32_e32 v1, 16, v1
	v_add_nc_u32_e32 v28, ttmp9, v1
	s_wait_kmcnt 0x0
	s_delay_alu instid0(VALU_DEP_1)
	v_cmpx_gt_u64_e64 s[12:13], v[28:29]
	s_cbranch_execz .LBB0_26
; %bb.1:
	s_clause 0x1
	s_load_b128 s[4:7], s[0:1], 0x18
	s_load_b128 s[8:11], s[0:1], 0x0
	v_mul_lo_u16 v1, v1, 63
	s_movk_i32 s2, 0xf724
	s_mov_b32 s3, -1
	s_delay_alu instid0(VALU_DEP_1) | instskip(NEXT) | instid1(VALU_DEP_1)
	v_sub_nc_u16 v23, v0, v1
	v_and_b32_e32 v100, 0xffff, v23
	s_wait_kmcnt 0x0
	s_load_b128 s[16:19], s[4:5], 0x0
	s_wait_kmcnt 0x0
	v_mad_co_u64_u32 v[0:1], null, s18, v28, 0
	v_mad_co_u64_u32 v[2:3], null, s16, v100, 0
	s_mul_u64 s[4:5], s[16:17], 0x9d8
	s_mul_u64 s[2:3], s[16:17], s[2:3]
	s_delay_alu instid0(VALU_DEP_1) | instskip(NEXT) | instid1(VALU_DEP_1)
	v_mad_co_u64_u32 v[4:5], null, s19, v28, v[1:2]
	v_mov_b32_e32 v1, v4
	s_delay_alu instid0(VALU_DEP_3) | instskip(SKIP_2) | instid1(VALU_DEP_4)
	v_mad_co_u64_u32 v[5:6], null, s17, v100, v[3:4]
	v_lshlrev_b32_e32 v72, 2, v100
	v_add_nc_u32_e32 v188, 0x237, v100
	v_lshlrev_b64_e32 v[0:1], 2, v[0:1]
	v_add_nc_u32_e32 v192, 0x1b9, v100
	v_and_b32_e32 v7, 1, v100
	v_add_co_u32 v22, null, 0x17a, v100
	v_mov_b32_e32 v3, v5
	v_add_co_u32 v0, vcc_lo, s14, v0
	v_add_co_ci_u32_e32 v1, vcc_lo, s15, v1, vcc_lo
	s_delay_alu instid0(VALU_DEP_3)
	v_lshlrev_b64_e32 v[2:3], 2, v[2:3]
	s_clause 0x13
	global_load_b32 v96, v72, s[8:9] offset:3024
	global_load_b32 v92, v72, s[8:9] offset:3276
	;; [unrolled: 1-line block ×4, first 2 shown]
	global_load_b32 v105, v72, s[8:9]
	global_load_b32 v104, v72, s[8:9] offset:252
	global_load_b32 v98, v72, s[8:9] offset:504
	;; [unrolled: 1-line block ×15, first 2 shown]
	v_add_nc_u32_e32 v4, 0xc00, v72
	v_add_co_u32 v0, vcc_lo, v0, v2
	s_wait_alu 0xfffd
	v_add_co_ci_u32_e32 v1, vcc_lo, v1, v3, vcc_lo
	v_add_nc_u32_e32 v5, 0x400, v72
	s_delay_alu instid0(VALU_DEP_3) | instskip(SKIP_1) | instid1(VALU_DEP_3)
	v_add_co_u32 v2, vcc_lo, v0, s4
	s_wait_alu 0xfffd
	v_add_co_ci_u32_e32 v3, vcc_lo, s5, v1, vcc_lo
	global_load_b32 v34, v[0:1], off
	v_add_nc_u32_e32 v35, 0x600, v72
	v_add_nc_u32_e32 v46, 0xa00, v72
	global_load_b32 v33, v[2:3], off
	v_add_co_u32 v0, vcc_lo, v2, s2
	s_wait_alu 0xfffd
	v_add_co_ci_u32_e32 v1, vcc_lo, s3, v3, vcc_lo
	v_add_nc_u32_e32 v6, 0xe00, v72
	s_delay_alu instid0(VALU_DEP_3) | instskip(SKIP_1) | instid1(VALU_DEP_3)
	v_add_co_u32 v2, vcc_lo, v0, s4
	s_wait_alu 0xfffd
	v_add_co_ci_u32_e32 v3, vcc_lo, s5, v1, vcc_lo
	s_clause 0x1
	global_load_b32 v32, v[0:1], off
	global_load_b32 v31, v[2:3], off
	v_add_co_u32 v0, vcc_lo, v2, s2
	s_wait_alu 0xfffd
	v_add_co_ci_u32_e32 v1, vcc_lo, s3, v3, vcc_lo
	v_and_b32_e32 v48, 1, v188
	s_delay_alu instid0(VALU_DEP_3) | instskip(SKIP_1) | instid1(VALU_DEP_3)
	v_add_co_u32 v2, vcc_lo, v0, s4
	s_wait_alu 0xfffd
	v_add_co_ci_u32_e32 v3, vcc_lo, s5, v1, vcc_lo
	global_load_b32 v30, v[0:1], off
	global_load_b32 v29, v[2:3], off
	v_add_co_u32 v0, vcc_lo, v2, s2
	s_wait_alu 0xfffd
	v_add_co_ci_u32_e32 v1, vcc_lo, s3, v3, vcc_lo
	v_lshlrev_b32_e32 v70, 3, v100
	s_delay_alu instid0(VALU_DEP_3) | instskip(SKIP_1) | instid1(VALU_DEP_3)
	v_add_co_u32 v2, vcc_lo, v0, s4
	s_wait_alu 0xfffd
	v_add_co_ci_u32_e32 v3, vcc_lo, s5, v1, vcc_lo
	global_load_b32 v27, v[0:1], off
	v_add_co_u32 v0, vcc_lo, v2, s2
	s_wait_alu 0xfffd
	v_add_co_ci_u32_e32 v1, vcc_lo, s3, v3, vcc_lo
	global_load_b32 v26, v[2:3], off
	global_load_b32 v25, v[0:1], off
	v_add_co_u32 v0, vcc_lo, v0, s4
	s_wait_alu 0xfffd
	v_add_co_ci_u32_e32 v1, vcc_lo, s5, v1, vcc_lo
	v_lshlrev_b32_e32 v124, 3, v22
	s_delay_alu instid0(VALU_DEP_3) | instskip(SKIP_1) | instid1(VALU_DEP_3)
	v_add_co_u32 v2, vcc_lo, v0, s2
	s_wait_alu 0xfffd
	v_add_co_ci_u32_e32 v3, vcc_lo, s3, v1, vcc_lo
	global_load_b32 v24, v[0:1], off
	v_add_co_u32 v0, vcc_lo, v2, s4
	s_wait_alu 0xfffd
	v_add_co_ci_u32_e32 v1, vcc_lo, s5, v3, vcc_lo
	global_load_b32 v17, v[2:3], off
	global_load_b32 v16, v[0:1], off
	v_add_co_u32 v0, vcc_lo, v0, s2
	s_wait_alu 0xfffd
	v_add_co_ci_u32_e32 v1, vcc_lo, s3, v1, vcc_lo
	s_delay_alu instid0(VALU_DEP_2) | instskip(SKIP_1) | instid1(VALU_DEP_2)
	v_add_co_u32 v2, vcc_lo, v0, s4
	s_wait_alu 0xfffd
	v_add_co_ci_u32_e32 v3, vcc_lo, s5, v1, vcc_lo
	global_load_b32 v15, v[0:1], off
	global_load_b32 v14, v[2:3], off
	v_add_co_u32 v0, vcc_lo, v2, s2
	s_wait_alu 0xfffd
	v_add_co_ci_u32_e32 v1, vcc_lo, s3, v3, vcc_lo
	s_delay_alu instid0(VALU_DEP_2) | instskip(SKIP_1) | instid1(VALU_DEP_2)
	v_add_co_u32 v2, vcc_lo, v0, s4
	s_wait_alu 0xfffd
	v_add_co_ci_u32_e32 v3, vcc_lo, s5, v1, vcc_lo
	global_load_b32 v13, v[0:1], off
	v_add_co_u32 v0, vcc_lo, v2, s2
	s_wait_alu 0xfffd
	v_add_co_ci_u32_e32 v1, vcc_lo, s3, v3, vcc_lo
	global_load_b32 v12, v[2:3], off
	;; [unrolled: 4-line block ×5, first 2 shown]
	global_load_b32 v9, v[2:3], off
	v_add_nc_u32_e32 v1, 0x800, v72
	v_add_nc_u32_e32 v3, 0x200, v72
	;; [unrolled: 1-line block ×3, first 2 shown]
	s_load_b128 s[4:7], s[6:7], 0x0
	v_add_co_u32 v19, s2, v100, 63
	s_wait_alu 0xf1ff
	v_add_co_ci_u32_e64 v0, null, 0, 0, s2
	v_add_co_u32 v176, s2, 0x7e, v100
	s_wait_alu 0xf1ff
	v_add_co_ci_u32_e64 v0, null, 0, 0, s2
	v_add_co_u32 v18, s2, 0xbd, v100
	s_wait_alu 0xf1ff
	v_add_co_ci_u32_e64 v0, null, 0, 0, s2
	v_add_co_u32 v20, s2, 0xfc, v100
	s_wait_alu 0xf1ff
	v_add_co_ci_u32_e64 v0, null, 0, 0, s2
	v_add_co_u32 v21, s2, 0x13b, v100
	v_and_b32_e32 v49, 1, v18
	s_wait_alu 0xf1ff
	v_add_co_ci_u32_e64 v0, null, 0, 0, s2
	v_lshlrev_b32_e32 v0, 1, v100
	v_lshlrev_b32_e32 v129, 3, v19
	;; [unrolled: 1-line block ×8, first 2 shown]
	v_add_nc_u32_e32 v197, 0x3f0, v0
	s_load_b64 s[2:3], s[0:1], 0x38
	v_cmp_gt_u16_e32 vcc_lo, 42, v23
                                        ; implicit-def: $vgpr23
	s_wait_loadcnt 0x23
	v_lshrrev_b32_e32 v112, 16, v105
	s_wait_loadcnt 0x22
	v_lshrrev_b32_e32 v110, 16, v104
	s_wait_loadcnt 0x21
	v_lshrrev_b32_e32 v108, 16, v98
	s_wait_loadcnt 0x20
	v_lshrrev_b32_e32 v103, 16, v94
	v_lshrrev_b32_e32 v106, 16, v96
	v_lshrrev_b32_e32 v101, 16, v92
	s_wait_loadcnt 0x1f
	v_lshrrev_b32_e32 v99, 16, v90
	s_wait_loadcnt 0x1a
	;; [unrolled: 2-line block ×3, first 2 shown]
	v_lshrrev_b32_e32 v111, 16, v107
	v_lshrrev_b32_e32 v97, 16, v88
	;; [unrolled: 1-line block ×5, first 2 shown]
	s_wait_loadcnt 0x17
	v_lshrrev_b32_e32 v52, 16, v81
	v_lshrrev_b32_e32 v51, 16, v79
	s_wait_loadcnt 0x16
	v_lshrrev_b32_e32 v50, 16, v77
	v_lshrrev_b32_e32 v45, 16, v75
	;; [unrolled: 3-line block ×3, first 2 shown]
	s_wait_loadcnt 0x14
	v_lshrrev_b32_e32 v42, 16, v71
	s_wait_loadcnt 0x13
	v_lshrrev_b32_e32 v36, 16, v34
	v_mul_f16_e32 v37, v112, v34
	s_wait_loadcnt 0x12
	v_lshrrev_b32_e32 v39, 16, v33
	v_mul_f16_e32 v40, v111, v33
	v_mul_f16_e32 v38, v112, v36
	v_fma_f16 v36, v105, v36, -v37
	s_delay_alu instid0(VALU_DEP_2)
	v_fmac_f16_e32 v38, v105, v34
	v_mul_f16_e32 v34, v111, v39
	v_fma_f16 v39, v107, v39, -v40
	s_wait_loadcnt 0x11
	v_lshrrev_b32_e32 v37, 16, v32
	v_mul_f16_e32 v40, v110, v32
	v_pack_b32_f16 v36, v38, v36
	v_fmac_f16_e32 v34, v107, v33
	s_wait_loadcnt 0x10
	v_lshrrev_b32_e32 v38, 16, v31
	v_mul_f16_e32 v33, v110, v37
	v_fma_f16 v37, v104, v37, -v40
	v_mul_f16_e32 v41, v109, v31
	v_pack_b32_f16 v34, v34, v39
	s_delay_alu instid0(VALU_DEP_4)
	v_fmac_f16_e32 v33, v104, v32
	v_mul_f16_e32 v32, v109, v38
	s_wait_loadcnt 0xf
	v_lshrrev_b32_e32 v39, 16, v30
	v_mul_f16_e32 v40, v108, v30
	ds_store_b32 v72, v34 offset:2520
	v_pack_b32_f16 v33, v33, v37
	v_fmac_f16_e32 v32, v102, v31
	v_mul_f16_e32 v31, v108, v39
	s_wait_loadcnt 0xe
	v_lshrrev_b32_e32 v37, 16, v29
	v_fma_f16 v34, v98, v39, -v40
	v_mul_f16_e32 v39, v106, v29
	ds_store_2addr_b32 v72, v36, v33 offset1:63
	v_fmac_f16_e32 v31, v98, v30
	v_mul_f16_e32 v30, v106, v37
	s_wait_loadcnt 0xd
	v_lshrrev_b32_e32 v33, 16, v27
	v_fma_f16 v38, v102, v38, -v41
	v_fma_f16 v36, v96, v37, -v39
	v_mul_f16_e32 v37, v103, v27
	v_pack_b32_f16 v31, v31, v34
	v_fmac_f16_e32 v30, v96, v29
	v_mul_f16_e32 v29, v103, v33
	s_wait_loadcnt 0xc
	v_lshrrev_b32_e32 v34, 16, v26
	v_pack_b32_f16 v32, v32, v38
	v_fma_f16 v33, v94, v33, -v37
	v_pack_b32_f16 v30, v30, v36
	v_fmac_f16_e32 v29, v94, v27
	v_mul_f16_e32 v27, v101, v34
	s_wait_loadcnt 0xb
	v_lshrrev_b32_e32 v36, 16, v25
	v_mul_f16_e32 v38, v101, v26
	v_mul_f16_e32 v37, v99, v25
	ds_store_2addr_b32 v1, v32, v30 offset0:181 offset1:244
	v_pack_b32_f16 v29, v29, v33
	v_fmac_f16_e32 v27, v92, v26
	v_mul_f16_e32 v26, v99, v36
	s_wait_loadcnt 0xa
	v_lshrrev_b32_e32 v32, 16, v24
	v_fma_f16 v30, v90, v36, -v37
	v_mul_f16_e32 v33, v97, v24
	ds_store_2addr_b32 v72, v31, v29 offset0:126 offset1:189
	v_fmac_f16_e32 v26, v90, v25
	v_mul_f16_e32 v25, v97, v32
	s_wait_loadcnt 0x9
	v_lshrrev_b32_e32 v29, 16, v17
	v_fma_f16 v34, v92, v34, -v38
	v_fma_f16 v31, v88, v32, -v33
	v_mul_f16_e32 v32, v95, v17
	v_pack_b32_f16 v26, v26, v30
	v_fmac_f16_e32 v25, v88, v24
	v_mul_f16_e32 v24, v95, v29
	s_wait_loadcnt 0x8
	v_lshrrev_b32_e32 v30, 16, v16
	v_pack_b32_f16 v27, v27, v34
	v_fma_f16 v29, v86, v29, -v32
	v_pack_b32_f16 v25, v25, v31
	v_fmac_f16_e32 v24, v86, v17
	v_mul_f16_e32 v17, v93, v30
	s_wait_loadcnt 0x7
	v_lshrrev_b32_e32 v31, 16, v15
	v_mul_f16_e32 v33, v93, v16
	ds_store_2addr_b32 v4, v27, v25 offset0:51 offset1:114
	v_pack_b32_f16 v24, v24, v29
	v_fmac_f16_e32 v17, v84, v16
	v_mul_f16_e32 v16, v53, v31
	s_wait_loadcnt 0x6
	v_lshrrev_b32_e32 v27, 16, v14
	v_mul_f16_e32 v32, v53, v15
	ds_store_2addr_b32 v3, v26, v24 offset0:124 offset1:187
	s_wait_loadcnt 0x5
	v_lshrrev_b32_e32 v24, 16, v13
	v_fmac_f16_e32 v16, v82, v15
	v_mul_f16_e32 v15, v52, v27
	v_fma_f16 v25, v82, v31, -v32
	v_mul_f16_e32 v29, v52, v14
	v_mul_f16_e32 v26, v51, v13
	v_fma_f16 v30, v84, v30, -v33
	v_fmac_f16_e32 v15, v81, v14
	v_mul_f16_e32 v14, v51, v24
	v_fma_f16 v27, v81, v27, -v29
	v_pack_b32_f16 v16, v16, v25
	s_wait_loadcnt 0x4
	v_lshrrev_b32_e32 v25, 16, v12
	v_fma_f16 v24, v79, v24, -v26
	v_mul_f16_e32 v26, v50, v12
	v_fmac_f16_e32 v14, v79, v13
	s_wait_loadcnt 0x3
	v_lshrrev_b32_e32 v13, 16, v11
	v_pack_b32_f16 v15, v15, v27
	v_mul_f16_e32 v27, v50, v25
	v_fma_f16 v25, v77, v25, -v26
	v_mul_f16_e32 v26, v45, v11
	v_pack_b32_f16 v14, v14, v24
	v_mul_f16_e32 v24, v45, v13
	v_fmac_f16_e32 v27, v77, v12
	s_wait_loadcnt 0x2
	v_lshrrev_b32_e32 v12, 16, v8
	v_fma_f16 v13, v75, v13, -v26
	v_mul_f16_e32 v26, v44, v8
	v_fmac_f16_e32 v24, v75, v11
	s_wait_loadcnt 0x1
	v_lshrrev_b32_e32 v11, 16, v10
	v_pack_b32_f16 v17, v17, v30
	s_wait_loadcnt 0x0
	v_lshrrev_b32_e32 v30, 16, v9
	v_mul_f16_e32 v29, v44, v12
	v_fma_f16 v12, v74, v12, -v26
	v_mul_f16_e32 v26, v43, v10
	v_mul_f16_e32 v31, v43, v11
	;; [unrolled: 1-line block ×4, first 2 shown]
	v_fmac_f16_e32 v29, v74, v8
	v_fma_f16 v8, v73, v11, -v26
	v_fmac_f16_e32 v31, v73, v10
	v_fma_f16 v10, v71, v30, -v32
	v_fmac_f16_e32 v33, v71, v9
	v_pack_b32_f16 v9, v27, v25
	v_pack_b32_f16 v12, v29, v12
	v_pack_b32_f16 v11, v24, v13
	v_pack_b32_f16 v8, v31, v8
	v_pack_b32_f16 v10, v33, v10
	ds_store_2addr_b32 v4, v17, v15 offset0:177 offset1:240
	ds_store_2addr_b32 v5, v16, v14 offset0:122 offset1:185
	;; [unrolled: 1-line block ×4, first 2 shown]
	ds_store_b32 v72, v10 offset:4788
	global_wb scope:SCOPE_SE
	s_wait_dscnt 0x0
	s_wait_kmcnt 0x0
	s_barrier_signal -1
	s_barrier_wait -1
	global_inv scope:SCOPE_SE
	ds_load_2addr_b32 v[8:9], v72 offset1:63
	ds_load_2addr_b32 v[10:11], v1 offset0:118 offset1:181
	ds_load_2addr_b32 v[12:13], v72 offset0:126 offset1:189
	;; [unrolled: 1-line block ×9, first 2 shown]
	v_and_b32_e32 v51, 1, v192
	v_and_b32_e32 v50, 1, v21
	v_lshlrev_b32_e32 v52, 2, v7
	v_lshlrev_b32_e32 v53, 2, v48
	global_wb scope:SCOPE_SE
	s_wait_dscnt 0x0
	v_lshlrev_b32_e32 v56, 2, v51
	v_lshlrev_b32_e32 v55, 2, v50
	s_barrier_signal -1
	s_barrier_wait -1
	global_inv scope:SCOPE_SE
	v_pk_add_f16 v37, v8, v10 neg_lo:[0,1] neg_hi:[0,1]
	v_pk_add_f16 v10, v9, v11 neg_lo:[0,1] neg_hi:[0,1]
	;; [unrolled: 1-line block ×10, first 2 shown]
	v_pk_fma_f16 v36, v8, 2.0, v37 op_sel_hi:[1,0,1] neg_lo:[0,0,1] neg_hi:[0,0,1]
	v_and_b32_e32 v8, 1, v19
	v_pk_fma_f16 v9, v9, 2.0, v10 op_sel_hi:[1,0,1] neg_lo:[0,0,1] neg_hi:[0,0,1]
	v_pk_fma_f16 v38, v12, 2.0, v39 op_sel_hi:[1,0,1] neg_lo:[0,0,1] neg_hi:[0,0,1]
	;; [unrolled: 1-line block ×9, first 2 shown]
	ds_store_b64 v70, v[36:37]
	ds_store_b64 v129, v[9:10]
	;; [unrolled: 1-line block ×7, first 2 shown]
	ds_store_b64 v70, v[29:30] offset:3528
	ds_store_b64 v47, v[44:45] offset:4032
	;; [unrolled: 1-line block ×3, first 2 shown]
	v_lshlrev_b32_e32 v9, 2, v8
	global_wb scope:SCOPE_SE
	s_wait_dscnt 0x0
	s_barrier_signal -1
	s_barrier_wait -1
	global_inv scope:SCOPE_SE
	s_clause 0x9
	global_load_b32 v115, v52, s[10:11]
	global_load_b32 v113, v53, s[10:11]
	global_load_u16 v122, v54, s[10:11] offset:2
	global_load_u16 v119, v55, s[10:11] offset:2
	;; [unrolled: 1-line block ×4, first 2 shown]
	global_load_u16 v120, v55, s[10:11]
	global_load_u16 v121, v54, s[10:11]
	;; [unrolled: 1-line block ×4, first 2 shown]
	v_and_or_b32 v9, 0x7c, v0, v7
	v_lshlrev_b32_e32 v10, 1, v19
	v_lshlrev_b32_e32 v11, 1, v176
	;; [unrolled: 1-line block ×8, first 2 shown]
	v_and_or_b32 v8, 0xfc, v10, v8
	v_and_or_b32 v9, 0x1fc, v11, v7
	;; [unrolled: 1-line block ×8, first 2 shown]
	v_lshlrev_b32_e32 v131, 2, v8
	v_lshlrev_b32_e32 v132, 2, v9
	;; [unrolled: 1-line block ×3, first 2 shown]
	ds_load_2addr_b32 v[7:8], v1 offset0:118 offset1:181
	ds_load_2addr_b32 v[9:10], v72 offset1:63
	v_lshlrev_b32_e32 v134, 2, v11
	v_lshlrev_b32_e32 v135, 2, v12
	ds_load_2addr_b32 v[11:12], v46 offset0:116 offset1:179
	ds_load_2addr_b32 v[13:14], v72 offset0:126 offset1:189
	v_lshlrev_b32_e32 v136, 2, v15
	v_lshlrev_b32_e32 v137, 2, v16
	ds_load_2addr_b32 v[15:16], v4 offset0:114 offset1:177
	ds_load_2addr_b32 v[29:30], v3 offset0:124 offset1:187
	;; [unrolled: 1-line block ×6, first 2 shown]
	v_lshlrev_b32_e32 v0, 1, v188
	v_lshlrev_b32_e32 v138, 2, v17
	global_wb scope:SCOPE_SE
	s_wait_loadcnt_dscnt 0x0
	s_barrier_signal -1
	s_barrier_wait -1
	v_and_or_b32 v0, 0x4fc, v0, v48
	global_inv scope:SCOPE_SE
	v_lshlrev_b32_e32 v139, 2, v0
	v_lshrrev_b32_e32 v0, 16, v7
	v_lshrrev_b32_e32 v35, 16, v8
	;; [unrolled: 1-line block ×22, first 2 shown]
	v_mul_f16_e32 v53, v39, v122
	v_mul_f16_e32 v54, v12, v122
	;; [unrolled: 1-line block ×6, first 2 shown]
	v_mul_f16_e64 v61, v0, v142
	v_mul_f16_e64 v62, v7, v142
	;; [unrolled: 1-line block ×6, first 2 shown]
	v_fma_f16 v12, v12, v121, -v53
	v_fmac_f16_e32 v54, v39, v121
	v_mul_f16_e64 v39, v15, v142
	v_mul_f16_e64 v53, v41, v142
	v_fma_f16 v16, v16, v120, -v55
	v_fmac_f16_e32 v56, v43, v120
	v_mul_f16_e64 v43, v24, v142
	v_mul_f16_e64 v55, v45, v142
	v_fma_f16 v25, v25, v118, -v57
	v_fmac_f16_e32 v58, v47, v118
	v_mul_f16_e64 v47, v26, v142
	v_mul_f16_e64 v57, v49, v142
	v_mul_f16_e32 v59, v51, v116
	v_mul_f16_e32 v60, v27, v116
	v_fma_f16 v7, v7, v115, -v61
	v_fmac_f16_e32 v62, v0, v115
	v_fma_f16 v0, v8, v123, -v63
	v_fmac_f16_e32 v64, v35, v123
	v_fmac_f16_e32 v65, v37, v115
	v_fma_f16 v8, v11, v115, -v66
	v_sub_f16_e32 v11, v14, v12
	v_sub_f16_e32 v12, v40, v54
	v_fmac_f16_e32 v39, v41, v115
	v_fma_f16 v15, v15, v115, -v53
	v_sub_f16_e32 v16, v30, v16
	v_sub_f16_e32 v35, v44, v56
	v_fmac_f16_e32 v43, v45, v115
	v_fma_f16 v37, v24, v115, -v55
	v_fmac_f16_e32 v47, v49, v115
	v_fma_f16 v26, v26, v115, -v57
	v_fma_f16 v27, v27, v113, -v59
	v_fmac_f16_e32 v60, v51, v113
	v_sub_f16_e32 v7, v9, v7
	v_sub_f16_e32 v45, v17, v62
	;; [unrolled: 1-line block ×6, first 2 shown]
	v_fma_f16 v14, v14, 2.0, -v11
	v_fma_f16 v40, v40, 2.0, -v12
	v_pack_b32_f16 v11, v11, v12
	v_sub_f16_e32 v12, v42, v39
	v_sub_f16_e32 v15, v29, v15
	v_fma_f16 v30, v30, 2.0, -v16
	v_fma_f16 v39, v44, 2.0, -v35
	v_pack_b32_f16 v16, v16, v35
	v_sub_f16_e32 v35, v46, v43
	v_sub_f16_e32 v37, v31, v37
	;; [unrolled: 1-line block ×8, first 2 shown]
	v_fma_f16 v9, v9, 2.0, -v7
	v_fma_f16 v17, v17, 2.0, -v45
	;; [unrolled: 1-line block ×4, first 2 shown]
	v_pack_b32_f16 v7, v7, v45
	v_fma_f16 v38, v38, 2.0, -v51
	v_pack_b32_f16 v45, v8, v51
	v_fma_f16 v8, v13, 2.0, -v8
	;; [unrolled: 2-line block ×6, first 2 shown]
	v_fma_f16 v37, v50, 2.0, -v44
	v_fma_f16 v33, v33, 2.0, -v47
	v_fma_f16 v32, v32, 2.0, -v25
	v_fma_f16 v43, v48, 2.0, -v41
	v_pack_b32_f16 v41, v25, v41
	v_fma_f16 v25, v34, 2.0, -v24
	v_fma_f16 v26, v52, 2.0, -v27
	v_pack_b32_f16 v9, v9, v17
	v_pack_b32_f16 v0, v0, v49
	;; [unrolled: 1-line block ×11, first 2 shown]
	ds_store_2addr_b32 v130, v9, v7 offset1:2
	ds_store_2addr_b32 v131, v10, v0 offset1:2
	ds_store_2addr_b32 v132, v8, v45 offset1:2
	ds_store_2addr_b32 v133, v13, v11 offset1:2
	ds_store_2addr_b32 v134, v14, v12 offset1:2
	ds_store_2addr_b32 v135, v29, v16 offset1:2
	ds_store_2addr_b32 v136, v15, v35 offset1:2
	ds_store_2addr_b32 v137, v32, v41 offset1:2
	ds_store_2addr_b32 v138, v17, v39 offset1:2
	ds_store_2addr_b32 v139, v40, v34 offset1:2
	global_wb scope:SCOPE_SE
	s_wait_dscnt 0x0
	s_barrier_signal -1
	s_barrier_wait -1
	global_inv scope:SCOPE_SE
	ds_load_2addr_b32 v[16:17], v5 offset0:164 offset1:227
	ds_load_2addr_b32 v[14:15], v4 offset0:72 offset1:135
	;; [unrolled: 1-line block ×7, first 2 shown]
	ds_load_2addr_b32 v[2:3], v72 offset1:63
	ds_load_2addr_b32 v[0:1], v72 offset0:126 offset1:189
                                        ; implicit-def: $vgpr33
	s_and_saveexec_b32 s0, vcc_lo
	s_cbranch_execz .LBB0_3
; %bb.2:
	ds_load_b32 v25, v72 offset:1512
	ds_load_b32 v24, v72 offset:3192
	;; [unrolled: 1-line block ×3, first 2 shown]
	s_wait_dscnt 0x2
	v_lshrrev_b32_e32 v26, 16, v25
	s_wait_dscnt 0x1
	v_lshrrev_b32_e32 v27, 16, v24
	;; [unrolled: 2-line block ×3, first 2 shown]
.LBB0_3:
	s_wait_alu 0xfffe
	s_or_b32 exec_lo, exec_lo, s0
	v_and_b32_e32 v34, 3, v100
	v_and_b32_e32 v35, 3, v21
	;; [unrolled: 1-line block ×4, first 2 shown]
	v_lshrrev_b32_e32 v57, 2, v100
	v_lshlrev_b32_e32 v29, 3, v34
	v_lshlrev_b32_e32 v37, 3, v35
	;; [unrolled: 1-line block ×4, first 2 shown]
	v_lshrrev_b32_e32 v58, 2, v19
	s_clause 0x9
	global_load_b64 v[29:30], v29, s[10:11] offset:8
	global_load_b32 v146, v37, s[10:11] offset:8
	global_load_b32 v147, v37, s[10:11] offset:10
	;; [unrolled: 1-line block ×6, first 2 shown]
	global_load_b64 v[31:32], v31, s[10:11] offset:8
	global_load_u16 v152, v37, s[10:11] offset:14
	global_load_u16 v151, v38, s[10:11] offset:14
	v_and_b32_e32 v37, 3, v19
	v_and_b32_e32 v38, 3, v176
	v_lshrrev_b32_e32 v60, 2, v18
	v_lshrrev_b32_e32 v61, 2, v20
	;; [unrolled: 1-line block ×3, first 2 shown]
	v_lshlrev_b32_e32 v39, 3, v37
	v_lshlrev_b32_e32 v40, 3, v38
	v_lshrrev_b32_e32 v59, 2, v176
	s_clause 0x1
	global_load_u16 v158, v39, s[10:11] offset:8
	global_load_u16 v157, v40, s[10:11] offset:8
	v_mul_u32_u24_e32 v57, 12, v57
	v_mul_u32_u24_e32 v58, 12, v58
	;; [unrolled: 1-line block ×6, first 2 shown]
	s_wait_dscnt 0x8
	v_lshrrev_b32_e32 v40, 16, v16
	s_wait_dscnt 0x7
	v_lshrrev_b32_e32 v41, 16, v14
	;; [unrolled: 2-line block ×4, first 2 shown]
	v_lshrrev_b32_e32 v63, 2, v22
	v_or_b32_e32 v57, v57, v34
	v_or_b32_e32 v37, v58, v37
	;; [unrolled: 1-line block ×5, first 2 shown]
	v_lshrrev_b32_e32 v43, 16, v17
	v_lshrrev_b32_e32 v44, 16, v15
	;; [unrolled: 1-line block ×4, first 2 shown]
	v_or_b32_e32 v38, v59, v38
	v_lshrrev_b32_e32 v48, 16, v13
	v_lshrrev_b32_e32 v49, 16, v7
	v_lshrrev_b32_e32 v50, 16, v10
	v_lshrrev_b32_e32 v53, 16, v8
	scratch_store_b32 off, v63, off         ; 4-byte Folded Spill
	v_lshlrev_b32_e32 v155, 2, v57
	v_lshlrev_b32_e32 v154, 2, v37
	;; [unrolled: 1-line block ×6, first 2 shown]
	v_lshrrev_b32_e32 v54, 16, v5
	s_wait_dscnt 0x1
	v_lshrrev_b32_e32 v39, 16, v2
	v_lshrrev_b32_e32 v42, 16, v3
	s_wait_dscnt 0x0
	v_lshrrev_b32_e32 v45, 16, v0
	v_lshrrev_b32_e32 v51, 16, v1
	;; [unrolled: 1-line block ×3, first 2 shown]
	global_wb scope:SCOPE_SE
	s_wait_loadcnt 0x0
	s_wait_storecnt 0x0
	s_barrier_signal -1
	s_barrier_wait -1
	global_inv scope:SCOPE_SE
	v_lshrrev_b32_e32 v175, 16, v146
	v_mul_f16_e64 v34, v55, v147
	v_lshrrev_b32_e32 v174, 16, v143
	v_lshrrev_b32_e32 v173, 16, v141
	v_mul_f16_e64 v35, v11, v147
	v_lshrrev_b32_e32 v171, 16, v140
	v_lshrrev_b32_e32 v170, 16, v31
	;; [unrolled: 1-line block ×5, first 2 shown]
	v_mul_f16_e64 v36, v56, v152
	v_mul_f16_e64 v37, v9, v152
	;; [unrolled: 1-line block ×8, first 2 shown]
	v_lshrrev_b32_e32 v172, 16, v147
	v_mul_f16_e64 v64, v43, v175
	v_mul_f16_e64 v65, v17, v175
	;; [unrolled: 1-line block ×4, first 2 shown]
	v_lshrrev_b32_e32 v169, 16, v145
	v_mul_f16_e64 v38, v27, v145
	v_mul_f16_e64 v58, v33, v151
	;; [unrolled: 1-line block ×14, first 2 shown]
	v_fma_f16 v11, v11, v146, -v34
	v_fmac_f16_e64 v35, v55, v146
	v_fma_f16 v9, v9, v143, -v36
	v_fmac_f16_e64 v37, v56, v143
	v_fmac_f16_e64 v57, v27, v141
	;; [unrolled: 1-line block ×3, first 2 shown]
	v_fma_f16 v16, v16, v29, -v60
	v_fmac_f16_e32 v61, v40, v29
	v_fma_f16 v14, v14, v30, -v62
	v_fmac_f16_e32 v63, v41, v30
	v_fma_f16 v17, v17, v158, -v64
	v_fmac_f16_e64 v65, v43, v158
	v_fma_f16 v15, v15, v172, -v66
	v_fmac_f16_e64 v67, v44, v172
	v_fma_f16 v24, v24, v141, -v38
	v_fma_f16 v23, v23, v140, -v58
	;; [unrolled: 1-line block ×3, first 2 shown]
	v_fmac_f16_e64 v69, v46, v157
	v_fma_f16 v6, v6, v169, -v159
	v_fmac_f16_e64 v160, v47, v169
	v_fma_f16 v13, v13, v31, -v161
	;; [unrolled: 2-line block ×5, first 2 shown]
	v_fmac_f16_e64 v179, v53, v30
	v_add_f16_e32 v33, v11, v9
	v_sub_f16_e32 v34, v35, v37
	v_add_f16_e32 v36, v54, v35
	v_add_f16_e32 v35, v35, v37
	;; [unrolled: 1-line block ×10, first 2 shown]
	v_add_f16_e64 v66, v69, v160
	v_sub_f16_e32 v11, v11, v9
	v_add_f16_e32 v38, v25, v24
	v_sub_f16_e32 v41, v57, v59
	v_add_f16_e32 v43, v26, v57
	;; [unrolled: 2-line block ×4, first 2 shown]
	v_sub_f16_e32 v16, v16, v14
	v_sub_f16_e32 v57, v65, v67
	v_add_f16_e32 v58, v42, v65
	v_sub_f16_e64 v64, v69, v160
	v_add_f16_e32 v65, v45, v69
	v_add_f16_e32 v69, v13, v7
	v_sub_f16_e64 v159, v162, v166
	v_add_f16_e64 v161, v51, v162
	v_add_f16_e64 v162, v162, v166
	;; [unrolled: 1-line block ×3, first 2 shown]
	v_sub_f16_e64 v178, v177, v179
	v_add_f16_e64 v180, v52, v177
	v_add_f16_e64 v177, v177, v179
	v_fmac_f16_e32 v5, -0.5, v33
	v_fmac_f16_e32 v54, -0.5, v35
	;; [unrolled: 1-line block ×3, first 2 shown]
	v_fma_f16 v2, -0.5, v47, v2
	v_fmac_f16_e32 v39, -0.5, v50
	v_add_f16_e32 v55, v3, v17
	v_sub_f16_e32 v17, v17, v15
	v_add_f16_e32 v9, v27, v9
	v_add_f16_e32 v33, v36, v37
	v_fmac_f16_e32 v3, -0.5, v56
	v_fmac_f16_e32 v42, -0.5, v60
	v_add_f16_e32 v61, v0, v12
	v_sub_f16_e32 v12, v12, v6
	v_fmac_f16_e32 v25, -0.5, v40
	v_fma_f16 v0, -0.5, v62, v0
	v_fmac_f16_e32 v45, -0.5, v66
	v_add_f16_e32 v68, v1, v13
	v_sub_f16_e32 v13, v13, v7
	v_add_f16_e64 v165, v4, v10
	v_sub_f16_e32 v10, v10, v8
	v_add_f16_e32 v27, v38, v23
	v_add_f16_e32 v14, v46, v14
	;; [unrolled: 1-line block ×3, first 2 shown]
	v_fmac_f16_e32 v1, -0.5, v69
	v_fmac_f16_e64 v51, -0.5, v162
	v_fma_f16 v4, -0.5, v167, v4
	v_fmac_f16_e64 v52, -0.5, v177
	v_fmamk_f16 v40, v34, 0x3aee, v5
	v_fmac_f16_e32 v5, 0xbaee, v34
	v_fmamk_f16 v34, v11, 0xbaee, v54
	v_fmac_f16_e32 v54, 0x3aee, v11
	;; [unrolled: 2-line block ×3, first 2 shown]
	v_fmamk_f16 v11, v53, 0x3aee, v2
	v_fmamk_f16 v24, v16, 0xbaee, v39
	v_fmac_f16_e32 v2, 0xbaee, v53
	v_fmac_f16_e32 v39, 0x3aee, v16
	v_add_f16_e32 v15, v55, v15
	v_add_f16_e32 v35, v58, v67
	v_pack_b32_f16 v9, v9, v33
	v_fmamk_f16 v16, v57, 0x3aee, v3
	v_fmamk_f16 v33, v17, 0xbaee, v42
	v_fmac_f16_e32 v3, 0xbaee, v57
	v_fmac_f16_e32 v42, 0x3aee, v17
	v_add_f16_e32 v6, v61, v6
	v_add_f16_e64 v36, v65, v160
	v_fmamk_f16 v49, v41, 0x3aee, v25
	v_fmac_f16_e32 v25, 0xbaee, v41
	v_fmamk_f16 v17, v64, 0x3aee, v0
	v_fmamk_f16 v41, v12, 0xbaee, v45
	v_add_f16_e32 v48, v43, v59
	v_add_f16_e32 v7, v68, v7
	v_add_f16_e64 v37, v161, v166
	v_add_f16_e64 v8, v165, v8
	;; [unrolled: 1-line block ×3, first 2 shown]
	v_fmac_f16_e32 v0, 0xbaee, v64
	v_fmac_f16_e32 v45, 0x3aee, v12
	v_fma_f16 v12, 0x3aee, v159, v1
	v_fmac_f16_e64 v1, 0xbaee, v159
	v_fmamk_f16 v43, v13, 0xbaee, v51
	v_fmac_f16_e32 v51, 0x3aee, v13
	v_fma_f16 v13, 0x3aee, v178, v4
	v_fmac_f16_e64 v4, 0xbaee, v178
	v_fmamk_f16 v44, v10, 0xbaee, v52
	v_fmac_f16_e32 v52, 0x3aee, v10
	v_pack_b32_f16 v10, v14, v23
	v_pack_b32_f16 v11, v11, v24
	;; [unrolled: 1-line block ×17, first 2 shown]
	ds_store_2addr_b32 v155, v10, v11 offset1:4
	ds_store_b32 v155, v2 offset:32
	ds_store_2addr_b32 v154, v14, v16 offset1:4
	ds_store_b32 v154, v3 offset:32
	ds_store_2addr_b32 v153, v6, v17 offset1:4
	ds_store_b32 v153, v0 offset:32
	ds_store_2addr_b32 v150, v7, v12 offset1:4
	ds_store_b32 v150, v1 offset:32
	ds_store_2addr_b32 v149, v8, v13 offset1:4
	ds_store_b32 v149, v4 offset:32
	ds_store_2addr_b32 v148, v9, v15 offset1:4
	ds_store_b32 v148, v5 offset:32
	s_and_saveexec_b32 s0, vcc_lo
	s_cbranch_execz .LBB0_5
; %bb.4:
	v_lshrrev_b32_e32 v0, 2, v22
	v_perm_b32 v1, v48, v27, 0x5040100
	v_perm_b32 v2, v50, v49, 0x5040100
	;; [unrolled: 1-line block ×3, first 2 shown]
	s_delay_alu instid0(VALU_DEP_4) | instskip(NEXT) | instid1(VALU_DEP_1)
	v_mul_u32_u24_e32 v0, 12, v0
	v_or_b32_e32 v0, v0, v114
	s_delay_alu instid0(VALU_DEP_1)
	v_lshlrev_b32_e32 v0, 2, v0
	ds_store_2addr_b32 v0, v1, v2 offset1:4
	ds_store_b32 v0, v3 offset:32
.LBB0_5:
	s_wait_alu 0xfffe
	s_or_b32 exec_lo, exec_lo, s0
	v_add_nc_u32_e32 v0, 0x400, v72
	v_add_nc_u32_e32 v1, 0xc00, v72
	;; [unrolled: 1-line block ×3, first 2 shown]
	global_wb scope:SCOPE_SE
	s_wait_dscnt 0x0
	s_barrier_signal -1
	s_barrier_wait -1
	global_inv scope:SCOPE_SE
	ds_load_2addr_b32 v[2:3], v72 offset1:63
	ds_load_2addr_b32 v[12:13], v0 offset0:164 offset1:227
	ds_load_2addr_b32 v[10:11], v1 offset0:72 offset1:135
	v_add_nc_u32_e32 v0, 0xe00, v72
	v_add_nc_u32_e32 v1, 0x200, v72
	;; [unrolled: 1-line block ×3, first 2 shown]
	ds_load_2addr_b32 v[4:5], v72 offset0:126 offset1:189
	ds_load_2addr_b32 v[16:17], v6 offset0:34 offset1:97
	;; [unrolled: 1-line block ×6, first 2 shown]
	s_and_saveexec_b32 s0, vcc_lo
	s_cbranch_execz .LBB0_7
; %bb.6:
	ds_load_b32 v27, v72 offset:1512
	ds_load_b32 v49, v72 offset:3192
	;; [unrolled: 1-line block ×3, first 2 shown]
	s_wait_dscnt 0x2
	v_lshrrev_b32_e32 v48, 16, v27
	s_wait_dscnt 0x1
	v_lshrrev_b32_e32 v50, 16, v49
	;; [unrolled: 2-line block ×3, first 2 shown]
.LBB0_7:
	s_wait_alu 0xfffe
	s_or_b32 exec_lo, exec_lo, s0
	v_and_b32_e32 v33, 0xff, v100
	v_and_b32_e32 v47, 0xff, v19
	;; [unrolled: 1-line block ×5, first 2 shown]
	v_mul_lo_u16 v33, 0xab, v33
	v_mul_lo_u16 v34, 0xab, v47
	v_and_b32_e32 v36, 0xffff, v21
	v_and_b32_e32 v37, 0xffff, v22
	v_mul_u32_u24_e32 v35, 0xaaab, v35
	v_lshrrev_b16 v53, 11, v33
	v_lshrrev_b16 v54, 11, v34
	v_mul_lo_u16 v33, 0xab, v23
	v_mul_lo_u16 v34, 0xab, v24
	v_mul_u32_u24_e32 v36, 0xaaab, v36
	v_mul_lo_u16 v38, v53, 12
	v_mul_lo_u16 v39, v54, 12
	v_lshrrev_b16 v55, 11, v33
	v_lshrrev_b16 v56, 11, v34
	v_lshrrev_b32_e32 v57, 19, v35
	v_sub_nc_u16 v33, v100, v38
	v_sub_nc_u16 v34, v19, v39
	v_mul_lo_u16 v35, v55, 12
	v_mul_lo_u16 v38, v56, 12
	v_lshrrev_b32_e32 v60, 19, v36
	v_and_b32_e32 v58, 0xff, v33
	v_and_b32_e32 v59, 0xff, v34
	v_sub_nc_u16 v33, v176, v35
	v_sub_nc_u16 v34, v18, v38
	v_mul_u32_u24_e32 v37, 0xaaab, v37
	v_lshlrev_b32_e32 v35, 3, v58
	v_lshlrev_b32_e32 v36, 3, v59
	v_and_b32_e32 v61, 0xff, v33
	v_mul_lo_u16 v33, v57, 12
	v_and_b32_e32 v62, 0xff, v34
	v_mul_lo_u16 v34, v60, 12
	v_lshrrev_b32_e32 v63, 19, v37
	v_lshlrev_b32_e32 v37, 3, v61
	v_sub_nc_u16 v64, v20, v33
	v_lshlrev_b32_e32 v20, 3, v62
	v_sub_nc_u16 v65, v21, v34
	v_mul_lo_u16 v21, v63, 12
	s_clause 0x2
	global_load_b64 v[45:46], v35, s[10:11] offset:40
	global_load_b64 v[43:44], v36, s[10:11] offset:40
	;; [unrolled: 1-line block ×3, first 2 shown]
	v_lshlrev_b16 v33, 3, v64
	v_lshlrev_b16 v34, 3, v65
	v_sub_nc_u16 v22, v22, v21
	global_load_b64 v[39:40], v20, s[10:11] offset:40
	v_mul_lo_u16 v53, v53, 36
	v_and_b32_e32 v20, 0xffff, v33
	v_and_b32_e32 v33, 0xffff, v34
	v_lshlrev_b16 v34, 3, v22
	v_and_b32_e32 v54, 0xffff, v54
	v_and_b32_e32 v55, 0xffff, v55
	v_add_co_u32 v20, s0, s10, v20
	s_delay_alu instid0(VALU_DEP_4)
	v_and_b32_e32 v35, 0xffff, v34
	s_wait_alu 0xf1ff
	v_add_co_ci_u32_e64 v21, null, s11, 0, s0
	v_add_co_u32 v33, s0, s10, v33
	s_wait_alu 0xf1ff
	v_add_co_ci_u32_e64 v34, null, s11, 0, s0
	v_add_co_u32 v51, s0, s10, v35
	s_wait_alu 0xf1ff
	v_add_co_ci_u32_e64 v52, null, s11, 0, s0
	s_clause 0x2
	global_load_b64 v[37:38], v[20:21], off offset:40
	global_load_b64 v[35:36], v[33:34], off offset:40
	;; [unrolled: 1-line block ×3, first 2 shown]
	v_and_b32_e32 v56, 0xffff, v56
	v_and_b32_e32 v53, 0xfc, v53
	v_mad_u16 v57, v57, 36, v64
	v_mad_u16 v60, v60, 36, v65
	s_wait_dscnt 0x7
	v_lshrrev_b32_e32 v21, 16, v12
	s_wait_dscnt 0x6
	v_lshrrev_b32_e32 v51, 16, v10
	v_lshrrev_b32_e32 v66, 16, v13
	;; [unrolled: 1-line block ×3, first 2 shown]
	s_wait_dscnt 0x4
	v_lshrrev_b32_e32 v69, 16, v16
	s_wait_dscnt 0x3
	v_lshrrev_b32_e32 v193, 16, v14
	v_lshrrev_b32_e32 v195, 16, v17
	v_mul_u32_u24_e32 v54, 36, v54
	v_mul_u32_u24_e32 v55, 36, v55
	;; [unrolled: 1-line block ×3, first 2 shown]
	v_mad_u16 v159, v63, 36, v22
	v_add_lshl_u32 v167, v53, v58, 2
	v_and_b32_e32 v22, 0xffff, v57
	v_and_b32_e32 v53, 0xffff, v60
	v_lshrrev_b32_e32 v196, 16, v15
	s_wait_dscnt 0x1
	v_lshrrev_b32_e32 v199, 16, v8
	s_wait_dscnt 0x0
	v_lshrrev_b32_e32 v200, 16, v6
	v_lshrrev_b32_e32 v202, 16, v9
	;; [unrolled: 1-line block ×3, first 2 shown]
	v_add_lshl_u32 v166, v54, v59, 2
	v_add_lshl_u32 v165, v55, v61, 2
	;; [unrolled: 1-line block ×3, first 2 shown]
	v_lshlrev_b32_e32 v161, 2, v22
	v_lshlrev_b32_e32 v160, 2, v53
	v_lshrrev_b32_e32 v20, 16, v2
	v_lshrrev_b32_e32 v52, 16, v3
	;; [unrolled: 1-line block ×6, first 2 shown]
	global_wb scope:SCOPE_SE
	s_wait_loadcnt 0x0
	s_barrier_signal -1
	s_barrier_wait -1
	global_inv scope:SCOPE_SE
	v_lshrrev_b32_e32 v191, 16, v45
	v_lshrrev_b32_e32 v190, 16, v46
	;; [unrolled: 1-line block ×8, first 2 shown]
	v_mul_f16_e64 v22, v21, v191
	v_mul_f16_e64 v53, v12, v191
	;; [unrolled: 1-line block ×16, first 2 shown]
	v_fma_f16 v12, v12, v45, -v22
	v_lshrrev_b32_e32 v184, 16, v37
	v_lshrrev_b32_e32 v182, 16, v38
	;; [unrolled: 1-line block ×6, first 2 shown]
	v_fmac_f16_e32 v53, v21, v45
	v_fma_f16 v21, v10, v46, -v54
	v_fmac_f16_e32 v55, v51, v46
	v_fma_f16 v13, v13, v43, -v56
	v_fmac_f16_e32 v57, v66, v43
	v_fma_f16 v22, v11, v44, -v58
	v_fmac_f16_e32 v59, v67, v44
	v_fma_f16 v16, v16, v41, -v60
	v_fmac_f16_e32 v61, v69, v41
	v_fma_f16 v14, v14, v42, -v62
	v_fmac_f16_e64 v63, v193, v42
	v_fma_f16 v17, v17, v39, -v64
	v_fmac_f16_e64 v65, v195, v39
	v_fmac_f16_e64 v205, v196, v40
	v_mul_f16_e64 v51, v199, v184
	v_mul_f16_e64 v54, v8, v184
	;; [unrolled: 1-line block ×12, first 2 shown]
	v_fma_f16 v15, v15, v40, -v204
	v_fma_f16 v8, v8, v37, -v51
	v_fmac_f16_e64 v54, v199, v37
	v_fma_f16 v51, v6, v38, -v56
	v_fmac_f16_e64 v58, v200, v38
	;; [unrolled: 2-line block ×4, first 2 shown]
	v_fma_f16 v7, v49, v33, -v67
	v_fmac_f16_e32 v11, v50, v33
	v_fma_f16 v6, v25, v34, -v69
	v_fmac_f16_e32 v10, v26, v34
	v_add_f16_e32 v25, v2, v12
	v_add_f16_e32 v26, v12, v21
	v_sub_f16_e32 v49, v53, v55
	v_add_f16_e32 v50, v20, v53
	v_add_f16_e32 v53, v53, v55
	;; [unrolled: 1-line block ×4, first 2 shown]
	v_add_f16_e64 v193, v4, v16
	v_sub_f16_e64 v196, v61, v63
	v_add_f16_e64 v199, v68, v61
	v_add_f16_e32 v61, v61, v63
	v_sub_f16_e64 v203, v65, v205
	v_add_f16_e64 v204, v194, v65
	v_add_f16_e64 v65, v65, v205
	v_add_f16_e32 v64, v13, v22
	v_sub_f16_e32 v67, v57, v59
	v_add_f16_e32 v57, v57, v59
	v_add_f16_e64 v195, v16, v14
	v_add_f16_e64 v202, v17, v15
	v_sub_f16_e32 v12, v12, v21
	v_sub_f16_e32 v13, v13, v22
	;; [unrolled: 1-line block ×3, first 2 shown]
	v_add_f16_e64 v200, v5, v17
	v_sub_f16_e32 v17, v17, v15
	v_add_f16_e32 v21, v25, v21
	v_fma_f16 v25, -0.5, v26, v2
	v_add_f16_e32 v26, v50, v55
	v_fmac_f16_e32 v20, -0.5, v53
	v_add_f16_e32 v22, v60, v22
	v_add_f16_e32 v50, v69, v59
	v_add_f16_e64 v14, v193, v14
	v_add_f16_e64 v55, v199, v63
	v_fmac_f16_e32 v68, -0.5, v61
	v_fmac_f16_e64 v194, -0.5, v65
	v_add_f16_e32 v59, v0, v8
	v_add_f16_e32 v60, v8, v51
	v_sub_f16_e32 v61, v54, v58
	v_add_f16_e64 v63, v198, v54
	v_add_f16_e32 v54, v54, v58
	v_sub_f16_e32 v69, v62, v66
	v_add_f16_e64 v193, v201, v62
	v_add_f16_e32 v62, v62, v66
	v_fmac_f16_e32 v3, -0.5, v64
	v_fmac_f16_e32 v52, -0.5, v57
	v_add_f16_e32 v65, v9, v56
	v_fma_f16 v53, -0.5, v195, v4
	v_fmac_f16_e64 v5, -0.5, v202
	v_sub_f16_e32 v64, v8, v51
	v_add_f16_e32 v8, v1, v9
	v_add_f16_e64 v195, v7, v6
	v_add_f16_e64 v199, v11, v10
	;; [unrolled: 1-line block ×4, first 2 shown]
	v_sub_f16_e32 v9, v9, v56
	v_fma_f16 v200, 0x3aee, v49, v25
	v_fmac_f16_e32 v25, 0xbaee, v49
	v_fmamk_f16 v49, v12, 0xbaee, v20
	v_fma_f16 v202, 0xbaee, v17, v194
	v_fmac_f16_e64 v194, 0x3aee, v17
	v_add_f16_e32 v17, v59, v51
	v_fma_f16 v51, -0.5, v60, v0
	v_fmac_f16_e64 v198, -0.5, v54
	v_fmac_f16_e64 v201, -0.5, v62
	v_fmac_f16_e32 v20, 0x3aee, v12
	v_fmamk_f16 v12, v67, 0x3aee, v3
	v_fmac_f16_e32 v3, 0xbaee, v67
	v_fmamk_f16 v67, v13, 0xbaee, v52
	v_fmac_f16_e32 v1, -0.5, v65
	v_fmac_f16_e32 v52, 0x3aee, v13
	v_sub_f16_e32 v2, v11, v10
	v_sub_f16_e32 v4, v7, v6
	v_fma_f16 v13, 0x3aee, v196, v53
	v_fmac_f16_e64 v53, 0xbaee, v196
	v_fma_f16 v196, 0xbaee, v16, v68
	v_fmac_f16_e32 v68, 0x3aee, v16
	v_fma_f16 v16, 0x3aee, v203, v5
	v_fmac_f16_e64 v5, 0xbaee, v203
	v_add_f16_e32 v54, v8, v56
	v_fma_f16 v0, -0.5, v195, v27
	v_fma_f16 v8, -0.5, v199, v48
	v_add_f16_e32 v58, v63, v58
	v_pack_b32_f16 v21, v21, v26
	v_pack_b32_f16 v22, v22, v50
	;; [unrolled: 1-line block ×3, first 2 shown]
	v_fmamk_f16 v26, v61, 0x3aee, v51
	v_fma_f16 v50, 0xbaee, v64, v198
	v_fma_f16 v57, 0xbaee, v9, v201
	v_fmac_f16_e64 v201, 0x3aee, v9
	v_pack_b32_f16 v9, v200, v49
	v_fmac_f16_e32 v51, 0xbaee, v61
	v_fmac_f16_e64 v198, 0x3aee, v64
	v_pack_b32_f16 v20, v25, v20
	v_add_f16_e64 v56, v193, v66
	v_pack_b32_f16 v14, v14, v55
	v_fmamk_f16 v55, v69, 0x3aee, v1
	v_pack_b32_f16 v12, v12, v67
	v_fmac_f16_e32 v1, 0xbaee, v69
	v_pack_b32_f16 v3, v3, v52
	v_fma_f16 v230, 0xbaee, v2, v0
	v_fma_f16 v231, 0x3aee, v4, v8
	v_pack_b32_f16 v13, v13, v196
	v_pack_b32_f16 v5, v5, v194
	;; [unrolled: 1-line block ×5, first 2 shown]
	ds_store_2addr_b32 v167, v21, v9 offset1:12
	ds_store_b32 v167, v20 offset:96
	ds_store_2addr_b32 v166, v22, v12 offset1:12
	ds_store_b32 v166, v3 offset:96
	;; [unrolled: 2-line block ×3, first 2 shown]
	ds_store_2addr_b32 v162, v15, v16 offset1:12
	v_pack_b32_f16 v3, v26, v50
	v_pack_b32_f16 v9, v51, v198
	;; [unrolled: 1-line block ×5, first 2 shown]
	ds_store_b32 v162, v5 offset:96
	ds_store_2addr_b32 v161, v17, v3 offset1:12
	ds_store_b32 v161, v9 offset:96
	ds_store_2addr_b32 v160, v49, v12 offset1:12
	ds_store_b32 v160, v1 offset:96
	s_and_saveexec_b32 s0, vcc_lo
	s_cbranch_execz .LBB0_9
; %bb.8:
	v_mul_f16_e32 v1, 0x3aee, v4
	v_add_f16_e32 v3, v48, v11
	v_add_f16_e32 v4, v27, v7
	v_mul_f16_e32 v2, 0x3aee, v2
	v_and_b32_e32 v5, 0xffff, v159
	v_sub_f16_e32 v1, v8, v1
	v_add_f16_e32 v3, v3, v10
	v_add_f16_e32 v4, v4, v6
	;; [unrolled: 1-line block ×3, first 2 shown]
	v_lshlrev_b32_e32 v2, 2, v5
	s_delay_alu instid0(VALU_DEP_3) | instskip(NEXT) | instid1(VALU_DEP_3)
	v_pack_b32_f16 v3, v4, v3
	v_pack_b32_f16 v0, v0, v1
	v_perm_b32 v1, v231, v230, 0x5040100
	ds_store_2addr_b32 v2, v3, v0 offset1:12
	ds_store_b32 v2, v1 offset:96
.LBB0_9:
	s_wait_alu 0xfffe
	s_or_b32 exec_lo, exec_lo, s0
	v_add_co_u32 v0, s0, 0xffffffdc, v100
	s_wait_alu 0xf1ff
	v_add_co_ci_u32_e64 v1, null, 0, -1, s0
	v_cmp_gt_u16_e64 s0, 36, v100
	global_wb scope:SCOPE_SE
	s_wait_dscnt 0x0
	s_barrier_signal -1
	s_barrier_wait -1
	global_inv scope:SCOPE_SE
	s_wait_alu 0xf1ff
	v_cndmask_b32_e64 v8, v0, v100, s0
	v_cndmask_b32_e64 v9, v1, 0, s0
	v_mul_lo_u16 v4, v47, 57
	v_add_nc_u32_e32 v10, 0x200, v72
	v_add_nc_u32_e32 v12, 0x600, v72
	;; [unrolled: 1-line block ×3, first 2 shown]
	v_lshlrev_b64_e32 v[0:1], 4, v[8:9]
	v_lshrrev_b16 v9, 11, v4
	v_add_nc_u32_e32 v13, 0xe00, v72
	v_add_nc_u32_e32 v206, 0x400, v72
	;; [unrolled: 1-line block ×4, first 2 shown]
	v_add_co_u32 v0, s0, s10, v0
	s_wait_alu 0xf1ff
	v_add_co_ci_u32_e64 v1, s0, s11, v1, s0
	v_mul_lo_u16 v4, v9, 36
	v_cmp_lt_u16_e64 s0, 35, v100
	v_add_nc_u32_e32 v209, 0x1000, v72
	global_load_b128 v[0:3], v[0:1], off offset:136
	v_and_b32_e32 v9, 0xffff, v9
	v_sub_nc_u16 v4, v19, v4
	s_delay_alu instid0(VALU_DEP_2) | instskip(NEXT) | instid1(VALU_DEP_2)
	v_mul_u32_u24_e32 v9, 0xb4, v9
	v_and_b32_e32 v27, 0xff, v4
	s_delay_alu instid0(VALU_DEP_1)
	v_lshlrev_b32_e32 v4, 4, v27
	global_load_b128 v[4:7], v4, s[10:11] offset:136
	ds_load_2addr_b32 v[10:11], v10 offset0:124 offset1:187
	ds_load_2addr_b32 v[19:20], v12 offset0:120 offset1:183
	;; [unrolled: 1-line block ×4, first 2 shown]
	v_mul_lo_u16 v12, v24, 57
	s_wait_alu 0xf1ff
	v_cndmask_b32_e64 v13, 0, 0xb4, s0
	ds_load_2addr_b32 v[47:48], v72 offset1:63
	v_lshrrev_b16 v58, 11, v12
	v_add_lshl_u32 v193, v8, v13, 2
	s_delay_alu instid0(VALU_DEP_2) | instskip(NEXT) | instid1(VALU_DEP_1)
	v_mul_lo_u16 v8, v58, 36
	v_sub_nc_u16 v8, v18, v8
	s_wait_dscnt 0x4
	v_lshrrev_b32_e32 v12, 16, v10
	s_wait_dscnt 0x3
	v_lshrrev_b32_e32 v13, 16, v19
	;; [unrolled: 2-line block ×4, first 2 shown]
	v_and_b32_e32 v8, 0xff, v8
	s_wait_dscnt 0x0
	v_lshrrev_b32_e32 v66, 16, v47
	s_wait_loadcnt 0x1
	v_lshrrev_b32_e32 v201, 16, v0
	v_lshrrev_b32_e32 v200, 16, v1
	;; [unrolled: 1-line block ×4, first 2 shown]
	s_delay_alu instid0(VALU_DEP_4) | instskip(NEXT) | instid1(VALU_DEP_4)
	v_mul_f16_e64 v16, v12, v201
	v_mul_f16_e64 v17, v13, v200
	s_delay_alu instid0(VALU_DEP_4) | instskip(NEXT) | instid1(VALU_DEP_4)
	v_mul_f16_e64 v24, v14, v199
	v_mul_f16_e64 v49, v15, v198
	;; [unrolled: 1-line block ×6, first 2 shown]
	v_fma_f16 v10, v10, v0, -v16
	v_fma_f16 v63, v19, v1, -v17
	;; [unrolled: 1-line block ×4, first 2 shown]
	v_fmac_f16_e32 v59, v12, v0
	v_fmac_f16_e32 v60, v13, v1
	v_sub_f16_e32 v12, v10, v63
	v_fmac_f16_e32 v61, v14, v2
	v_sub_f16_e32 v13, v25, v21
	v_fmac_f16_e32 v62, v15, v3
	v_sub_f16_e64 v196, v10, v25
	v_sub_f16_e32 v14, v59, v60
	v_sub_f16_e64 v195, v60, v61
	v_add_f16_e32 v64, v12, v13
	v_add_f16_e32 v12, v47, v10
	;; [unrolled: 1-line block ×3, first 2 shown]
	v_sub_f16_e64 v194, v59, v62
	v_sub_f16_e32 v15, v62, v61
	v_sub_f16_e64 v202, v63, v21
	v_add_f16_e32 v12, v12, v63
	v_add_f16_e32 v13, v13, v60
	s_wait_loadcnt 0x0
	v_lshrrev_b32_e32 v216, 16, v4
	v_add_f16_e32 v65, v14, v15
	v_lshrrev_b32_e32 v217, 16, v5
	v_add_f16_e32 v12, v12, v21
	v_add_f16_e32 v13, v13, v61
	v_lshrrev_b32_e32 v214, 16, v6
	v_lshrrev_b32_e32 v215, 16, v7
	s_delay_alu instid0(VALU_DEP_4) | instskip(NEXT) | instid1(VALU_DEP_4)
	v_add_f16_e32 v12, v12, v25
	v_add_f16_e32 v13, v13, v62
	s_delay_alu instid0(VALU_DEP_1) | instskip(SKIP_2) | instid1(VALU_DEP_2)
	v_pack_b32_f16 v67, v12, v13
	v_add_f16_e32 v12, v63, v21
	v_sub_f16_e32 v21, v21, v25
	v_fma_f16 v68, -0.5, v12, v47
	v_add_f16_e32 v12, v60, v61
	v_sub_f16_e32 v60, v60, v59
	v_add_f16_e32 v59, v59, v62
	v_sub_f16_e32 v61, v61, v62
	v_sub_f16_e32 v62, v63, v10
	v_fma_f16 v69, -0.5, v12, v66
	v_fma_f16 v12, 0x3b9c, v194, v68
	v_add_f16_e32 v10, v10, v25
	v_fmac_f16_e32 v66, -0.5, v59
	v_add_f16_e32 v21, v62, v21
	v_fma_f16 v13, 0xbb9c, v196, v69
	v_fmac_f16_e64 v12, 0x38b4, v195
	v_fma_f16 v10, -0.5, v10, v47
	v_add_f16_e32 v25, v60, v61
	v_lshrrev_b32_e32 v59, 16, v22
	v_fmac_f16_e64 v13, 0xb8b4, v202
	v_fmac_f16_e32 v12, 0x34f2, v64
	v_fma_f16 v47, 0xbb9c, v195, v10
	v_fmac_f16_e64 v10, 0x3b9c, v195
	v_lshrrev_b32_e32 v61, 16, v26
	v_fmac_f16_e32 v13, 0x34f2, v65
	v_mul_f16_e64 v60, v59, v214
	v_fmac_f16_e64 v47, 0x38b4, v194
	v_fmac_f16_e64 v10, 0xb8b4, v194
	v_mul_f16_e64 v62, v61, v215
	v_pack_b32_f16 v203, v12, v13
	v_mul_lo_u16 v12, v23, 57
	v_lshlrev_b32_e32 v13, 4, v8
	ds_load_2addr_b32 v[52:53], v72 offset0:126 offset1:189
	ds_load_2addr_b32 v[23:24], v206 offset0:122 offset1:185
	;; [unrolled: 1-line block ×5, first 2 shown]
	v_fmac_f16_e32 v47, 0x34f2, v21
	v_fmac_f16_e32 v10, 0x34f2, v21
	v_lshrrev_b16 v204, 11, v12
	v_fma_f16 v21, 0x3b9c, v202, v66
	v_fmac_f16_e64 v66, 0xbb9c, v202
	v_fma_f16 v60, v22, v6, -v60
	v_fma_f16 v62, v26, v7, -v62
	v_mul_lo_u16 v12, v204, 36
	v_fmac_f16_e64 v21, 0xb8b4, v196
	v_fmac_f16_e64 v66, 0x38b4, v196
	v_mul_f16_e64 v22, v22, v214
	v_mul_f16_e64 v26, v26, v215
	v_sub_nc_u16 v12, v176, v12
	v_fmac_f16_e32 v21, 0x34f2, v25
	v_fmac_f16_e32 v66, 0x34f2, v25
	v_lshrrev_b32_e32 v25, 16, v20
	v_fmac_f16_e32 v22, v59, v6
	v_and_b32_e32 v205, 0xff, v12
	v_pack_b32_f16 v21, v47, v21
	v_pack_b32_f16 v10, v10, v66
	v_mul_f16_e64 v47, v25, v217
	v_fmac_f16_e32 v26, v61, v7
	v_lshlrev_b32_e32 v12, 4, v205
	s_clause 0x1
	global_load_b128 v[16:19], v12, s[10:11] offset:136
	global_load_b128 v[12:15], v13, s[10:11] offset:136
	global_wb scope:SCOPE_SE
	s_wait_loadcnt_dscnt 0x0
	s_barrier_signal -1
	s_barrier_wait -1
	global_inv scope:SCOPE_SE
	ds_store_2addr_b32 v193, v21, v10 offset0:72 offset1:108
	v_lshrrev_b32_e32 v10, 16, v11
	v_fma_f16 v47, v20, v5, -v47
	v_mul_f16_e64 v20, v20, v217
	v_lshrrev_b32_e32 v59, 16, v48
	v_sub_f16_e32 v63, v60, v62
	v_mul_f16_e64 v21, v10, v216
	ds_store_2addr_b32 v193, v67, v203 offset1:36
	v_fmac_f16_e32 v20, v25, v5
	v_sub_f16_e64 v203, v22, v26
	v_sub_f16_e64 v211, v47, v60
	v_fma_f16 v21, v11, v4, -v21
	v_mul_f16_e64 v11, v11, v216
	v_fmac_f16_e64 v68, 0xbb9c, v194
	v_fmac_f16_e64 v69, 0x3b9c, v196
	v_add_lshl_u32 v194, v9, v27, 2
	v_add_f16_e32 v25, v21, v62
	v_fmac_f16_e32 v11, v10, v4
	v_add_f16_e32 v10, v47, v60
	v_add_f16_e32 v61, v48, v21
	v_sub_f16_e64 v218, v21, v62
	v_fmac_f16_e64 v68, 0xb8b4, v195
	v_add_f16_e32 v66, v11, v26
	v_fma_f16 v10, -0.5, v10, v48
	v_fmac_f16_e32 v48, -0.5, v25
	v_sub_f16_e32 v25, v47, v21
	v_add_f16_e32 v67, v59, v11
	v_sub_f16_e64 v213, v11, v26
	v_sub_f16_e32 v21, v21, v47
	v_add_f16_e32 v47, v61, v47
	v_add_f16_e32 v25, v25, v63
	;; [unrolled: 1-line block ×3, first 2 shown]
	v_fmac_f16_e64 v69, 0x38b4, v202
	v_fmac_f16_e32 v68, 0x34f2, v64
	v_add_f16_e32 v47, v47, v60
	v_lshrrev_b32_e32 v229, 16, v53
	v_fma_f16 v63, -0.5, v63, v59
	v_fmac_f16_e32 v59, -0.5, v66
	v_sub_f16_e32 v66, v20, v11
	v_sub_f16_e32 v11, v11, v20
	v_fmac_f16_e32 v69, 0x34f2, v65
	v_add_f16_e32 v47, v47, v62
	v_fma_f16 v212, 0x3b9c, v211, v59
	v_add_f16_e64 v66, v66, v203
	v_sub_f16_e64 v203, v20, v22
	v_fmac_f16_e64 v59, 0xbb9c, v211
	v_add_f16_e32 v20, v67, v20
	v_fmac_f16_e64 v212, 0xb8b4, v218
	s_delay_alu instid0(VALU_DEP_4)
	v_fma_f16 v210, 0xbb9c, v203, v48
	v_fmac_f16_e64 v48, 0x3b9c, v203
	v_fmac_f16_e64 v59, 0x38b4, v218
	v_add_f16_e32 v20, v20, v22
	v_sub_f16_e32 v22, v26, v22
	v_fmac_f16_e64 v210, 0x38b4, v213
	v_fmac_f16_e64 v48, 0xb8b4, v213
	v_fmac_f16_e32 v59, 0x34f2, v66
	v_add_f16_e32 v20, v20, v26
	v_add_f16_e32 v11, v11, v22
	v_fma_f16 v22, 0x3b9c, v213, v10
	v_fmac_f16_e32 v48, 0x34f2, v25
	v_fma_f16 v26, 0xbb9c, v218, v63
	v_fmac_f16_e64 v210, 0x34f2, v25
	v_fmac_f16_e64 v212, 0x34f2, v66
	;; [unrolled: 1-line block ×3, first 2 shown]
	v_pack_b32_f16 v48, v48, v59
	v_sub_f16_e32 v59, v62, v60
	v_fmac_f16_e64 v26, 0xb8b4, v211
	v_pack_b32_f16 v20, v47, v20
	v_fmac_f16_e64 v63, 0x3b9c, v218
	v_lshrrev_b32_e32 v47, 16, v56
	v_add_f16_e32 v9, v21, v59
	v_fmac_f16_e32 v26, 0x34f2, v11
	v_pack_b32_f16 v21, v68, v69
	v_fmac_f16_e64 v10, 0xbb9c, v213
	v_fmac_f16_e64 v63, 0x38b4, v211
	v_fmac_f16_e32 v22, 0x34f2, v9
	s_delay_alu instid0(VALU_DEP_3) | instskip(NEXT) | instid1(VALU_DEP_3)
	v_fmac_f16_e64 v10, 0xb8b4, v203
	v_fmac_f16_e32 v63, 0x34f2, v11
	s_delay_alu instid0(VALU_DEP_3)
	v_pack_b32_f16 v22, v22, v26
	ds_store_b32 v193, v21 offset:576
	ds_store_2addr_b32 v194, v20, v22 offset1:36
	v_pack_b32_f16 v20, v210, v212
	v_lshrrev_b32_e32 v22, 16, v49
	v_lshrrev_b32_e32 v26, 16, v54
	;; [unrolled: 1-line block ×3, first 2 shown]
	v_fmac_f16_e32 v10, 0x34f2, v9
	ds_store_2addr_b32 v194, v20, v48 offset0:72 offset1:108
	v_and_b32_e32 v20, 0xffff, v204
	v_pack_b32_f16 v10, v10, v63
	s_delay_alu instid0(VALU_DEP_2) | instskip(NEXT) | instid1(VALU_DEP_1)
	v_mul_u32_u24_e32 v20, 0xb4, v20
	v_add_lshl_u32 v195, v20, v205, 2
	v_lshrrev_b32_e32 v20, 16, v23
	v_lshrrev_b32_e32 v221, 16, v16
	;; [unrolled: 1-line block ×6, first 2 shown]
	v_mul_f16_e64 v21, v23, v221
	v_mul_f16_e64 v25, v49, v219
	v_mul_f16_e64 v27, v54, v220
	v_mul_f16_e64 v48, v56, v218
	v_lshrrev_b32_e32 v225, 16, v13
	v_fmac_f16_e32 v21, v20, v16
	v_mul_f16_e64 v20, v20, v221
	v_fmac_f16_e32 v25, v22, v17
	v_mul_f16_e64 v22, v22, v219
	;; [unrolled: 2-line block ×4, first 2 shown]
	v_fma_f16 v20, v23, v16, -v20
	v_fma_f16 v22, v49, v17, -v22
	;; [unrolled: 1-line block ×3, first 2 shown]
	v_sub_f16_e32 v54, v48, v27
	v_fma_f16 v26, v56, v19, -v47
	v_add_f16_e32 v9, v52, v20
	v_sub_f16_e32 v47, v20, v22
	v_sub_f16_e32 v59, v21, v48
	;; [unrolled: 1-line block ×4, first 2 shown]
	v_add_f16_e32 v9, v9, v22
	v_sub_f16_e32 v61, v20, v26
	v_lshrrev_b32_e32 v223, 16, v14
	v_lshrrev_b32_e32 v222, 16, v15
	v_add_f16_e32 v47, v47, v49
	v_sub_f16_e32 v49, v21, v25
	v_add_f16_e32 v9, v9, v23
	s_delay_alu instid0(VALU_DEP_2) | instskip(SKIP_1) | instid1(VALU_DEP_3)
	v_add_f16_e32 v49, v49, v54
	v_add_f16_e32 v54, v11, v21
	;; [unrolled: 1-line block ×3, first 2 shown]
	s_delay_alu instid0(VALU_DEP_2) | instskip(NEXT) | instid1(VALU_DEP_1)
	v_add_f16_e32 v54, v54, v25
	v_add_f16_e32 v54, v54, v27
	s_delay_alu instid0(VALU_DEP_1) | instskip(NEXT) | instid1(VALU_DEP_1)
	v_add_f16_e32 v54, v54, v48
	v_pack_b32_f16 v9, v9, v54
	v_add_f16_e32 v54, v25, v27
	s_delay_alu instid0(VALU_DEP_1)
	v_fma_f16 v232, -0.5, v54, v11
	v_add_f16_e32 v54, v22, v23
	v_sub_f16_e32 v22, v22, v20
	v_add_f16_e32 v20, v20, v26
	v_sub_f16_e32 v23, v23, v26
	v_fma_f16 v63, 0xbb9c, v61, v232
	v_fma_f16 v56, -0.5, v54, v52
	v_sub_f16_e32 v54, v25, v27
	v_lshrrev_b32_e32 v26, 16, v57
	v_add_f16_e32 v22, v22, v23
	v_fmac_f16_e32 v63, 0xb8b4, v62
	v_fmamk_f16 v60, v59, 0x3b9c, v56
	v_lshrrev_b32_e32 v23, 16, v55
	v_fmac_f16_e32 v56, 0xbb9c, v59
	v_fmac_f16_e64 v232, 0x3b9c, v61
	v_fmac_f16_e32 v63, 0x34f2, v49
	v_fmac_f16_e32 v60, 0x38b4, v54
	s_delay_alu instid0(VALU_DEP_4) | instskip(NEXT) | instid1(VALU_DEP_4)
	v_fmac_f16_e32 v56, 0xb8b4, v54
	v_fmac_f16_e64 v232, 0x38b4, v62
	s_delay_alu instid0(VALU_DEP_3) | instskip(NEXT) | instid1(VALU_DEP_3)
	v_fmac_f16_e32 v60, 0x34f2, v47
	v_fmac_f16_e32 v56, 0x34f2, v47
	s_delay_alu instid0(VALU_DEP_3) | instskip(NEXT) | instid1(VALU_DEP_3)
	v_fmac_f16_e64 v232, 0x34f2, v49
	v_pack_b32_f16 v60, v60, v63
	ds_store_b32 v194, v10 offset:576
	ds_store_2addr_b32 v195, v9, v60 offset1:36
	v_add_f16_e32 v10, v21, v48
	v_sub_f16_e32 v9, v25, v21
	v_sub_f16_e32 v21, v27, v48
	v_mul_f16_e64 v27, v26, v222
	v_mul_f16_e64 v25, v55, v223
	v_fmac_f16_e32 v11, -0.5, v10
	v_fma_f16 v10, -0.5, v20, v52
	v_add_f16_e32 v9, v9, v21
	v_fma_f16 v27, v57, v15, -v27
	v_mul_f16_e64 v48, v57, v222
	v_fmamk_f16 v21, v62, 0x3b9c, v11
	v_fmamk_f16 v20, v54, 0xbb9c, v10
	v_fmac_f16_e32 v10, 0x3b9c, v54
	v_fmac_f16_e32 v11, 0xbb9c, v62
	;; [unrolled: 1-line block ×12, first 2 shown]
	v_mul_f16_e64 v22, v50, v225
	v_add_co_u32 v54, s0, s8, v72
	v_pack_b32_f16 v9, v20, v21
	s_delay_alu instid0(VALU_DEP_4)
	v_pack_b32_f16 v10, v10, v11
	v_lshrrev_b32_e32 v20, 16, v50
	v_mul_f16_e64 v11, v24, v224
	ds_store_2addr_b32 v195, v9, v10 offset0:72 offset1:108
	v_lshrrev_b32_e32 v9, 16, v24
	v_mul_f16_e64 v21, v20, v225
	v_fmac_f16_e32 v22, v20, v13
	v_sub_f16_e32 v20, v48, v25
	s_delay_alu instid0(VALU_DEP_4) | instskip(NEXT) | instid1(VALU_DEP_4)
	v_mul_f16_e64 v10, v9, v224
	v_fma_f16 v21, v50, v13, -v21
	v_and_b32_e32 v50, 0xffff, v58
	v_fmac_f16_e32 v11, v9, v12
	s_delay_alu instid0(VALU_DEP_4) | instskip(SKIP_1) | instid1(VALU_DEP_4)
	v_fma_f16 v10, v24, v12, -v10
	v_mul_f16_e64 v24, v23, v223
	v_mul_u32_u24_e32 v50, 0xb4, v50
	v_add_f16_e32 v23, v22, v25
	v_sub_f16_e32 v26, v11, v48
	v_sub_f16_e32 v47, v10, v27
	v_fma_f16 v24, v55, v14, -v24
	v_add_lshl_u32 v196, v50, v8, 2
	v_sub_f16_e32 v8, v10, v21
	v_fma_f16 v234, -0.5, v23, v229
	s_wait_alu 0xf1ff
	v_add_co_ci_u32_e64 v55, null, s9, 0, s0
	v_sub_f16_e32 v9, v27, v24
	v_add_f16_e32 v23, v21, v24
	v_sub_f16_e32 v49, v21, v24
	v_fma_f16 v235, 0xbb9c, v47, v234
	v_fmac_f16_e64 v234, 0x3b9c, v47
	v_add_f16_e32 v8, v8, v9
	v_sub_f16_e32 v9, v11, v22
	v_fma_f16 v59, -0.5, v23, v53
	v_sub_f16_e32 v23, v22, v25
	v_fmac_f16_e64 v235, 0xb8b4, v49
	v_fmac_f16_e64 v234, 0x38b4, v49
	v_add_f16_e32 v9, v9, v20
	v_add_f16_e32 v20, v53, v10
	v_fmamk_f16 v60, v26, 0x3b9c, v59
	v_fmac_f16_e32 v59, 0xbb9c, v26
	v_cmp_gt_u16_e64 s0, 54, v100
	v_fmac_f16_e64 v235, 0x34f2, v9
	v_add_f16_e32 v20, v20, v21
	v_fmac_f16_e32 v60, 0x38b4, v23
	v_fmac_f16_e32 v59, 0xb8b4, v23
	v_fmac_f16_e64 v234, 0x34f2, v9
	s_delay_alu instid0(VALU_DEP_4) | instskip(NEXT) | instid1(VALU_DEP_4)
	v_add_f16_e32 v20, v20, v24
	v_fmac_f16_e32 v60, 0x34f2, v8
	s_delay_alu instid0(VALU_DEP_4) | instskip(NEXT) | instid1(VALU_DEP_3)
	v_fmac_f16_e32 v59, 0x34f2, v8
	v_add_f16_e32 v57, v20, v27
	v_pack_b32_f16 v20, v56, v232
	s_delay_alu instid0(VALU_DEP_4) | instskip(NEXT) | instid1(VALU_DEP_4)
	v_pack_b32_f16 v50, v60, v235
	v_pack_b32_f16 v8, v59, v234
	ds_store_b32 v195, v20 offset:576
	v_add_f16_e64 v20, v229, v11
	ds_store_b32 v196, v8 offset:576
	v_add_f16_e32 v20, v20, v22
	v_sub_f16_e32 v22, v22, v11
	v_add_f16_e32 v11, v11, v48
	s_delay_alu instid0(VALU_DEP_3) | instskip(NEXT) | instid1(VALU_DEP_2)
	v_add_f16_e32 v20, v20, v25
	v_fmac_f16_e64 v229, -0.5, v11
	s_delay_alu instid0(VALU_DEP_2) | instskip(NEXT) | instid1(VALU_DEP_2)
	v_add_f16_e64 v233, v20, v48
	v_fma_f16 v236, 0x3b9c, v49, v229
	v_fmac_f16_e64 v229, 0xbb9c, v49
	s_delay_alu instid0(VALU_DEP_3) | instskip(NEXT) | instid1(VALU_DEP_3)
	v_pack_b32_f16 v20, v57, v233
	v_fmac_f16_e64 v236, 0xb8b4, v47
	s_delay_alu instid0(VALU_DEP_3)
	v_fmac_f16_e64 v229, 0x38b4, v47
	ds_store_2addr_b32 v196, v20, v50 offset1:36
	v_sub_f16_e32 v20, v21, v10
	v_add_f16_e32 v10, v10, v27
	v_sub_f16_e32 v21, v24, v27
	v_sub_f16_e32 v24, v25, v48
	s_delay_alu instid0(VALU_DEP_3) | instskip(NEXT) | instid1(VALU_DEP_3)
	v_fmac_f16_e32 v53, -0.5, v10
	v_add_f16_e32 v10, v20, v21
	s_delay_alu instid0(VALU_DEP_3) | instskip(NEXT) | instid1(VALU_DEP_3)
	v_add_f16_e32 v11, v22, v24
	v_fmamk_f16 v61, v23, 0xbb9c, v53
	v_fmac_f16_e32 v53, 0x3b9c, v23
	s_delay_alu instid0(VALU_DEP_3) | instskip(SKIP_1) | instid1(VALU_DEP_4)
	v_fmac_f16_e64 v236, 0x34f2, v11
	v_fmac_f16_e64 v229, 0x34f2, v11
	v_fmac_f16_e32 v61, 0x38b4, v26
	s_delay_alu instid0(VALU_DEP_4) | instskip(NEXT) | instid1(VALU_DEP_2)
	v_fmac_f16_e32 v53, 0xb8b4, v26
	v_fmac_f16_e32 v61, 0x34f2, v10
	s_delay_alu instid0(VALU_DEP_2) | instskip(NEXT) | instid1(VALU_DEP_2)
	v_fmac_f16_e32 v53, 0x34f2, v10
	v_pack_b32_f16 v10, v61, v236
	s_delay_alu instid0(VALU_DEP_2)
	v_pack_b32_f16 v11, v53, v229
	ds_store_2addr_b32 v196, v10, v11 offset0:72 offset1:108
	global_wb scope:SCOPE_SE
	s_wait_dscnt 0x0
	s_barrier_signal -1
	s_barrier_wait -1
	global_inv scope:SCOPE_SE
	ds_load_2addr_b32 v[66:67], v206 offset0:104 offset1:167
	ds_load_2addr_b32 v[64:65], v207 offset0:28 offset1:91
	;; [unrolled: 1-line block ×5, first 2 shown]
	ds_load_2addr_b32 v[24:25], v72 offset1:63
	ds_load_2addr_b32 v[68:69], v72 offset0:180 offset1:243
	s_and_saveexec_b32 s1, s0
	s_cbranch_execz .LBB0_11
; %bb.10:
	v_add_nc_u32_e32 v8, 0x100, v72
	v_add_nc_u32_e32 v9, 0x700, v72
	v_add_nc_u32_e32 v10, 0xd00, v72
	ds_load_b32 v230, v72 offset:4824
	ds_load_2addr_b32 v[56:57], v8 offset0:62 offset1:242
	ds_load_2addr_b32 v[60:61], v9 offset0:38 offset1:218
	;; [unrolled: 1-line block ×3, first 2 shown]
	s_wait_dscnt 0x3
	v_lshrrev_b32_e32 v231, 16, v230
	s_wait_dscnt 0x2
	v_lshrrev_b32_e32 v232, 16, v56
	v_lshrrev_b32_e32 v233, 16, v57
	s_wait_dscnt 0x0
	v_mov_b32_e32 v53, v58
	v_lshrrev_b32_e32 v235, 16, v60
	v_lshrrev_b32_e32 v236, 16, v61
	v_lshrrev_b32_e32 v229, 16, v58
	v_lshrrev_b32_e32 v234, 16, v59
.LBB0_11:
	s_wait_alu 0xfffe
	s_or_b32 exec_lo, exec_lo, s1
	v_mad_co_u64_u32 v[20:21], null, v100, 24, s[10:11]
	s_wait_dscnt 0x0
	v_lshrrev_b32_e32 v226, 16, v68
	v_lshrrev_b32_e32 v228, 16, v69
	;; [unrolled: 1-line block ×6, first 2 shown]
	s_clause 0x1
	global_load_b128 v[8:11], v[20:21], off offset:712
	global_load_b64 v[49:50], v[20:21], off offset:728
	v_lshrrev_b32_e32 v246, 16, v62
	v_lshrrev_b32_e32 v248, 16, v63
	;; [unrolled: 1-line block ×5, first 2 shown]
	s_wait_loadcnt 0x1
	v_lshrrev_b32_e32 v208, 16, v8
	v_lshrrev_b32_e32 v209, 16, v9
	;; [unrolled: 1-line block ×4, first 2 shown]
	s_wait_loadcnt 0x0
	v_lshrrev_b32_e32 v212, 16, v49
	v_mul_f16_e64 v22, v226, v208
	v_mul_f16_e64 v237, v68, v208
	;; [unrolled: 1-line block ×5, first 2 shown]
	v_fma_f16 v227, v68, v8, -v22
	s_clause 0x1
	global_load_b64 v[47:48], v[20:21], off offset:2240
	global_load_b128 v[20:23], v[20:21], off offset:2224
	v_mul_f16_e64 v253, v51, v212
	v_lshrrev_b32_e32 v213, 16, v50
	v_fmac_f16_e64 v237, v226, v8
	v_fmac_f16_e64 v241, v238, v9
	;; [unrolled: 1-line block ×5, first 2 shown]
	s_wait_loadcnt 0x1
	v_lshrrev_b32_e32 v206, 16, v47
	s_wait_loadcnt 0x0
	v_lshrrev_b32_e32 v202, 16, v20
	v_lshrrev_b32_e32 v203, 16, v21
	v_lshrrev_b32_e32 v204, 16, v22
	v_lshrrev_b32_e32 v205, 16, v23
	s_delay_alu instid0(VALU_DEP_4) | instskip(SKIP_1) | instid1(VALU_DEP_2)
	v_mul_f16_e64 v58, v228, v202
	v_mul_f16_e64 v68, v69, v202
	v_fma_f16 v58, v69, v20, -v58
	v_mul_f16_e64 v69, v238, v209
	s_delay_alu instid0(VALU_DEP_3) | instskip(SKIP_1) | instid1(VALU_DEP_3)
	v_fmac_f16_e64 v68, v228, v20
	v_add_f16_e64 v238, v241, v253
	v_fma_f16 v239, v66, v9, -v69
	v_mul_f16_e64 v69, v240, v203
	v_mul_f16_e64 v66, v67, v203
	s_delay_alu instid0(VALU_DEP_2) | instskip(SKIP_1) | instid1(VALU_DEP_3)
	v_fma_f16 v69, v67, v21, -v69
	v_mul_f16_e64 v67, v242, v210
	v_fmac_f16_e64 v66, v240, v21
	v_add_f16_e64 v242, v245, v249
	s_delay_alu instid0(VALU_DEP_3) | instskip(SKIP_2) | instid1(VALU_DEP_2)
	v_fma_f16 v243, v64, v10, -v67
	v_mul_f16_e64 v67, v244, v204
	v_mul_f16_e64 v64, v65, v204
	v_fma_f16 v67, v65, v22, -v67
	v_mul_f16_e64 v65, v246, v211
	s_delay_alu instid0(VALU_DEP_3) | instskip(NEXT) | instid1(VALU_DEP_2)
	v_fmac_f16_e64 v64, v244, v22
	v_fma_f16 v247, v62, v11, -v65
	v_mul_f16_e64 v65, v248, v205
	v_mul_f16_e64 v62, v63, v205
	s_delay_alu instid0(VALU_DEP_3) | instskip(NEXT) | instid1(VALU_DEP_3)
	v_add_f16_e64 v240, v243, v247
	v_fma_f16 v65, v63, v23, -v65
	v_mul_f16_e64 v63, v250, v212
	s_delay_alu instid0(VALU_DEP_4) | instskip(NEXT) | instid1(VALU_DEP_3)
	v_fmac_f16_e64 v62, v248, v23
	v_add_f16_e64 v250, v67, v65
	s_delay_alu instid0(VALU_DEP_3) | instskip(SKIP_3) | instid1(VALU_DEP_4)
	v_fma_f16 v251, v51, v49, -v63
	v_mul_f16_e64 v63, v252, v206
	v_mul_f16_e64 v51, v52, v206
	v_sub_f16_e32 v65, v65, v67
	v_add_f16_e64 v228, v239, v251
	s_delay_alu instid0(VALU_DEP_4) | instskip(SKIP_3) | instid1(VALU_DEP_3)
	v_fma_f16 v63, v52, v47, -v63
	v_lshrrev_b32_e32 v52, 16, v26
	v_fmac_f16_e64 v51, v252, v47
	v_lshrrev_b32_e32 v252, 16, v24
	v_mul_f16_e64 v207, v52, v213
	s_delay_alu instid0(VALU_DEP_1) | instskip(SKIP_2) | instid1(VALU_DEP_3)
	v_fma_f16 v254, v26, v50, -v207
	v_mul_f16_e64 v26, v26, v213
	v_lshrrev_b32_e32 v207, 16, v48
	v_sub_f16_e64 v226, v227, v254
	s_delay_alu instid0(VALU_DEP_3) | instskip(SKIP_1) | instid1(VALU_DEP_4)
	v_fmac_f16_e32 v26, v52, v50
	v_add_f16_e64 v52, v227, v254
	v_mul_f16_e64 v144, v255, v207
	s_delay_alu instid0(VALU_DEP_3) | instskip(NEXT) | instid1(VALU_DEP_3)
	v_add_f16_e64 v227, v237, v26
	v_add_f16_e64 v244, v228, v52
	v_sub_f16_e64 v26, v237, v26
	v_sub_f16_e64 v237, v239, v251
	;; [unrolled: 1-line block ×8, first 2 shown]
	v_add_f16_e64 v240, v240, v244
	v_add_f16_e64 v244, v238, v227
	v_sub_f16_e64 v246, v238, v227
	v_sub_f16_e64 v227, v227, v242
	;; [unrolled: 1-line block ×4, first 2 shown]
	v_add_f16_e64 v242, v242, v244
	v_add_f16_e64 v244, v241, v237
	v_sub_f16_e64 v241, v226, v241
	v_sub_f16_e64 v237, v237, v226
	;; [unrolled: 1-line block ×3, first 2 shown]
	v_mul_f16_e32 v52, 0x3a52, v52
	v_add_f16_e64 v226, v244, v226
	v_add_f16_e64 v244, v243, v239
	v_sub_f16_e64 v243, v26, v243
	v_sub_f16_e64 v239, v239, v26
	v_mul_f16_e64 v227, 0x3a52, v227
	v_fma_f16 v144, v27, v48, -v144
	v_add_f16_e64 v26, v244, v26
	v_mul_f16_e64 v244, 0x2b26, v228
	v_fma_f16 v228, 0x2b26, v228, v52
	v_fma_f16 v52, v245, 0xb9e0, -v52
	v_add_f16_e64 v249, v69, v63
	v_lshrrev_b32_e32 v253, 16, v25
	v_fma_f16 v244, v245, 0x39e0, -v244
	v_mul_f16_e64 v245, 0x2b26, v238
	v_fma_f16 v238, 0x2b26, v238, v227
	v_fma_f16 v227, v246, 0xb9e0, -v227
	v_add_f16_e64 v24, v24, v240
	v_mul_f16_e64 v27, v27, v207
	v_fma_f16 v245, v246, 0x39e0, -v245
	v_mul_f16_e64 v246, 0xb846, v247
	v_mul_f16_e64 v247, 0x3b00, v237
	v_sub_f16_e32 v63, v69, v63
	v_fmac_f16_e64 v27, v255, v48
	s_delay_alu instid0(VALU_DEP_4)
	v_fma_f16 v237, v237, 0x3b00, -v246
	v_fma_f16 v246, 0x3574, v241, v246
	v_fma_f16 v241, v241, 0xb574, -v247
	v_mul_f16_e64 v247, 0xb846, v248
	v_mul_f16_e64 v248, 0x3b00, v239
	v_fmac_f16_e64 v237, 0x370e, v226
	v_fmac_f16_e64 v246, 0x370e, v226
	;; [unrolled: 1-line block ×3, first 2 shown]
	v_fma_f16 v239, v239, 0x3b00, -v247
	v_fma_f16 v247, 0x3574, v243, v247
	v_fma_f16 v243, v243, 0xb574, -v248
	v_add_f16_e64 v248, v58, v144
	v_sub_f16_e64 v58, v58, v144
	v_fmac_f16_e64 v239, 0x370e, v26
	v_fmac_f16_e64 v247, 0x370e, v26
	;; [unrolled: 1-line block ×3, first 2 shown]
	v_add_f16_e64 v251, v249, v248
	v_fma_f16 v26, 0xbcab, v240, v24
	s_delay_alu instid0(VALU_DEP_2) | instskip(NEXT) | instid1(VALU_DEP_1)
	v_add_f16_e64 v251, v250, v251
	v_add_f16_e64 v254, v25, v251
	;; [unrolled: 1-line block ×3, first 2 shown]
	s_delay_alu instid0(VALU_DEP_1)
	v_fma_f16 v226, 0xbcab, v242, v25
	v_pack_b32_f16 v24, v24, v25
	v_add_f16_e64 v25, v228, v26
	v_add_f16_e64 v228, v244, v26
	v_add_f16_e32 v26, v52, v26
	v_add_f16_e64 v52, v245, v226
	v_add_f16_e64 v238, v238, v226
	;; [unrolled: 1-line block ×3, first 2 shown]
	v_sub_f16_e64 v227, v228, v239
	v_add_f16_e64 v228, v239, v228
	v_add_f16_e64 v239, v237, v52
	v_sub_f16_e64 v242, v238, v246
	v_sub_f16_e64 v240, v226, v241
	v_add_f16_e64 v226, v241, v226
	v_add_f16_e64 v241, v247, v25
	v_sub_f16_e64 v52, v52, v237
	v_add_f16_e64 v237, v243, v26
	v_sub_f16_e64 v26, v26, v243
	v_sub_f16_e64 v25, v25, v247
	v_add_f16_e64 v238, v246, v238
	v_pack_b32_f16 v241, v241, v242
	v_pack_b32_f16 v237, v237, v240
	;; [unrolled: 1-line block ×6, first 2 shown]
	ds_store_b32 v72, v241 offset:720
	ds_store_b32 v72, v237 offset:1440
	;; [unrolled: 1-line block ×6, first 2 shown]
	v_add_f16_e64 v237, v68, v27
	v_add_f16_e64 v238, v66, v51
	;; [unrolled: 1-line block ×3, first 2 shown]
	v_sub_f16_e32 v68, v68, v27
	v_sub_f16_e32 v66, v66, v51
	;; [unrolled: 1-line block ×3, first 2 shown]
	v_add_f16_e64 v25, v238, v237
	v_sub_f16_e64 v245, v249, v248
	v_sub_f16_e64 v246, v248, v250
	;; [unrolled: 1-line block ×4, first 2 shown]
	v_add_f16_e64 v240, v239, v25
	v_sub_f16_e64 v237, v237, v239
	v_sub_f16_e64 v238, v239, v238
	;; [unrolled: 1-line block ×4, first 2 shown]
	v_add_f16_e64 v241, v253, v240
	v_sub_f16_e64 v250, v66, v68
	v_mul_f16_e64 v237, 0x3a52, v237
	s_delay_alu instid0(VALU_DEP_3) | instskip(SKIP_3) | instid1(VALU_DEP_1)
	v_pack_b32_f16 v25, v254, v241
	v_fma_f16 v240, 0xbcab, v240, v241
	ds_store_2addr_b32 v72, v24, v25 offset1:63
	v_subrev_nc_u32_e32 v24, 54, v100
	v_cndmask_b32_e64 v24, v24, v176, s0
	s_delay_alu instid0(VALU_DEP_1) | instskip(SKIP_1) | instid1(VALU_DEP_2)
	v_mul_i32_i24_e32 v25, 24, v24
	v_mul_hi_i32_i24_e32 v26, 24, v24
	v_add_co_u32 v24, s1, s10, v25
	s_wait_alu 0xf1ff
	s_delay_alu instid0(VALU_DEP_2)
	v_add_co_ci_u32_e64 v25, s1, s11, v26, s1
	s_clause 0x1
	global_load_b64 v[51:52], v[24:25], off offset:728
	global_load_b128 v[24:27], v[24:25], off offset:712
	s_wait_loadcnt 0x1
	v_lshrrev_b32_e32 v228, 16, v51
	s_wait_loadcnt 0x0
	v_lshrrev_b32_e32 v176, 16, v25
	v_lshrrev_b32_e32 v226, 16, v26
	;; [unrolled: 1-line block ×3, first 2 shown]
	v_mul_f16_e64 v244, v59, v228
	s_delay_alu instid0(VALU_DEP_4) | instskip(NEXT) | instid1(VALU_DEP_4)
	v_mul_f16_e64 v64, v235, v176
	v_mul_f16_e64 v144, v61, v226
	s_delay_alu instid0(VALU_DEP_3) | instskip(NEXT) | instid1(VALU_DEP_3)
	v_fmac_f16_e64 v244, v234, v51
	v_fma_f16 v67, v60, v25, -v64
	v_mul_f16_e64 v64, v236, v226
	v_mul_f16_e64 v60, v60, v176
	v_fmac_f16_e64 v144, v236, v26
	s_delay_alu instid0(VALU_DEP_3) | instskip(SKIP_1) | instid1(VALU_DEP_4)
	v_fma_f16 v69, v61, v26, -v64
	v_mul_f16_e64 v61, v229, v227
	v_fmac_f16_e64 v60, v235, v25
	v_sub_f16_e64 v235, v58, v65
	s_delay_alu instid0(VALU_DEP_3) | instskip(SKIP_2) | instid1(VALU_DEP_2)
	v_fma_f16 v242, v53, v27, -v61
	v_mul_f16_e64 v53, v53, v227
	v_mul_f16_e64 v61, v234, v228
	v_fmac_f16_e64 v53, v229, v27
	v_lshrrev_b32_e32 v229, 16, v52
	s_delay_alu instid0(VALU_DEP_3) | instskip(NEXT) | instid1(VALU_DEP_2)
	v_fma_f16 v243, v59, v51, -v61
	v_mul_f16_e64 v59, v231, v229
	v_mul_f16_e64 v234, v230, v229
	s_delay_alu instid0(VALU_DEP_2) | instskip(SKIP_2) | instid1(VALU_DEP_4)
	v_fma_f16 v61, v230, v52, -v59
	v_add_f16_e32 v59, v65, v63
	v_lshrrev_b32_e32 v230, 16, v24
	v_fmac_f16_e64 v234, v231, v52
	v_sub_f16_e64 v231, v65, v63
	v_sub_f16_e32 v63, v63, v58
	v_add_f16_e64 v236, v59, v58
	v_add_f16_e32 v58, v62, v66
	v_mul_f16_e64 v59, v233, v230
	v_mul_f16_e64 v231, 0xb846, v231
	v_sub_f16_e64 v66, v67, v243
	v_add_f16_e64 v65, v60, v244
	v_add_f16_e32 v68, v58, v68
	v_mul_f16_e64 v58, v57, v230
	v_fma_f16 v57, v57, v24, -v59
	v_sub_f16_e64 v60, v60, v244
	v_fma_f16 v244, v63, 0x3b00, -v231
	v_fma_f16 v231, 0x3574, v235, v231
	v_fmac_f16_e64 v58, v233, v24
	v_add_f16_e32 v59, v57, v61
	v_sub_f16_e32 v64, v57, v61
	v_add_f16_e64 v61, v67, v243
	v_add_f16_e64 v57, v69, v242
	v_sub_f16_e64 v67, v242, v69
	v_add_f16_e64 v69, v144, v53
	v_sub_f16_e64 v53, v53, v144
	v_mul_f16_e64 v144, 0x3a52, v246
	v_mul_f16_e64 v233, 0x2b26, v247
	;; [unrolled: 1-line block ×5, first 2 shown]
	v_add_f16_e64 v62, v58, v234
	v_sub_f16_e64 v58, v58, v234
	v_fma_f16 v234, 0x2b26, v247, v144
	v_fma_f16 v233, v245, 0x39e0, -v233
	v_fma_f16 v144, v245, 0xb9e0, -v144
	v_mul_f16_e64 v242, 0x2b26, v238
	v_fma_f16 v235, v235, 0xb574, -v243
	v_fma_f16 v243, v250, 0x3b00, -v63
	v_fma_f16 v245, 0x3574, v249, v63
	v_fma_f16 v239, v249, 0xb574, -v239
	v_fma_f16 v63, 0xbcab, v251, v254
	v_fma_f16 v238, 0x2b26, v238, v237
	v_fma_f16 v237, v248, 0xb9e0, -v237
	v_fma_f16 v242, v248, 0x39e0, -v242
	v_fmac_f16_e64 v245, 0x370e, v68
	v_fmac_f16_e64 v243, 0x370e, v68
	;; [unrolled: 1-line block ×3, first 2 shown]
	v_add_f16_e64 v68, v234, v63
	v_add_f16_e64 v233, v233, v63
	;; [unrolled: 1-line block ×3, first 2 shown]
	v_add_f16_e32 v63, v61, v59
	v_fmac_f16_e64 v231, 0x370e, v236
	v_fmac_f16_e64 v235, 0x370e, v236
	v_add_f16_e64 v234, v238, v240
	v_add_f16_e64 v237, v237, v240
	v_fmac_f16_e64 v244, 0x370e, v236
	v_add_f16_e64 v236, v242, v240
	v_add_f16_e64 v246, v57, v63
	;; [unrolled: 1-line block ×3, first 2 shown]
	v_sub_f16_e64 v144, v144, v239
	v_sub_f16_e64 v239, v237, v235
	v_add_f16_e64 v235, v235, v237
	v_add_f16_e64 v237, v245, v68
	v_sub_f16_e64 v241, v234, v231
	v_add_f16_e64 v63, v56, v246
	v_sub_f16_e64 v56, v233, v243
	v_add_f16_e64 v238, v244, v236
	v_add_f16_e64 v233, v243, v233
	v_sub_f16_e64 v236, v236, v244
	v_sub_f16_e64 v68, v68, v245
	v_add_f16_e64 v231, v231, v234
	v_pack_b32_f16 v234, v237, v241
	v_pack_b32_f16 v237, v240, v239
	;; [unrolled: 1-line block ×6, first 2 shown]
	ds_store_b32 v72, v234 offset:972
	ds_store_b32 v72, v237 offset:1692
	;; [unrolled: 1-line block ×6, first 2 shown]
	v_sub_f16_e32 v56, v59, v57
	v_sub_f16_e64 v242, v57, v61
	v_add_f16_e32 v57, v65, v62
	v_sub_f16_e32 v68, v62, v69
	v_sub_f16_e64 v243, v69, v65
	v_sub_f16_e64 v236, v67, v66
	v_sub_f16_e64 v144, v64, v67
	v_add_f16_e32 v57, v69, v57
	v_add_f16_e32 v69, v67, v66
	;; [unrolled: 1-line block ×3, first 2 shown]
	v_sub_f16_e64 v235, v53, v60
	v_sub_f16_e32 v53, v58, v53
	v_mul_f16_e64 v238, 0x3a52, v56
	v_mul_f16_e64 v241, 0x3574, v144
	v_add_f16_e64 v239, v67, v58
	v_add_f16_e64 v67, v232, v57
	v_mul_f16_e64 v240, 0x3a52, v68
	v_mul_f16_e64 v237, 0x3574, v53
	v_fma_f16 v232, 0xbcab, v246, v63
	v_fma_f16 v53, 0x2b26, v242, v238
	v_add_f16_e64 v244, v69, v64
	v_fma_f16 v234, 0xbcab, v57, v67
	v_fma_f16 v68, 0xb846, v236, v241
	;; [unrolled: 1-line block ×3, first 2 shown]
	v_add_f16_e64 v231, v53, v232
	v_fma_f16 v53, 0x2b26, v243, v240
	v_lshlrev_b32_e32 v56, 3, v192
	v_fmac_f16_e64 v68, 0x370e, v244
	v_fmac_f16_e64 v69, 0x370e, v239
	v_lshlrev_b32_e32 v57, 2, v197
	v_add_f16_e64 v233, v53, v234
	v_lshlrev_b32_e32 v53, 3, v188
	s_delay_alu instid0(VALU_DEP_4) | instskip(NEXT) | instid1(VALU_DEP_3)
	v_sub_f16_e64 v188, v231, v69
	v_add_f16_e64 v192, v68, v233
	s_and_saveexec_b32 s1, s0
	s_cbranch_execz .LBB0_13
; %bb.12:
	v_mul_f16_e64 v197, 0x2b26, v243
	v_sub_f16_e32 v64, v66, v64
	v_sub_f16_e32 v62, v65, v62
	v_mul_f16_e64 v65, 0xb846, v236
	v_mul_f16_e64 v144, 0x2b26, v242
	v_sub_f16_e32 v59, v61, v59
	v_sub_f16_e32 v58, v60, v58
	v_mul_f16_e64 v60, 0xb846, v235
	v_mul_f16_e64 v242, 0x370e, v244
	v_fma_f16 v66, v64, 0xbb00, -v241
	v_fma_f16 v236, v62, 0xb9e0, -v240
	;; [unrolled: 1-line block ×4, first 2 shown]
	v_mul_f16_e64 v61, 0x370e, v239
	v_fma_f16 v238, v59, 0xb9e0, -v238
	v_fma_f16 v237, v58, 0xbb00, -v237
	;; [unrolled: 1-line block ×4, first 2 shown]
	v_add_f16_e64 v62, v62, v234
	v_add_f16_e64 v64, v242, v64
	;; [unrolled: 1-line block ×6, first 2 shown]
	v_add_f16_e32 v58, v61, v58
	v_add_f16_e64 v59, v59, v232
	v_sub_f16_e64 v144, v62, v64
	v_add_f16_e32 v62, v64, v62
	v_sub_f16_e64 v64, v233, v68
	v_add_f16_e64 v68, v69, v231
	v_add_f16_e64 v61, v66, v235
	v_sub_f16_e64 v65, v236, v60
	v_add_f16_e64 v197, v58, v59
	v_sub_f16_e64 v66, v235, v66
	v_add_f16_e64 v60, v60, v236
	v_sub_f16_e32 v58, v59, v58
	v_perm_b32 v59, v67, v63, 0x5040100
	v_pack_b32_f16 v63, v68, v64
	v_add_nc_u32_e32 v64, 0x100, v72
	v_pack_b32_f16 v60, v60, v66
	v_pack_b32_f16 v58, v58, v62
	v_add_nc_u32_e32 v62, 0x700, v72
	v_pack_b32_f16 v66, v197, v144
	v_pack_b32_f16 v61, v65, v61
	v_add_nc_u32_e32 v65, 0xd00, v72
	v_perm_b32 v67, v192, v188, 0x5040100
	ds_store_2addr_b32 v64, v59, v63 offset0:62 offset1:242
	ds_store_2addr_b32 v62, v60, v58 offset0:38 offset1:218
	;; [unrolled: 1-line block ×3, first 2 shown]
	ds_store_b32 v72, v67 offset:4824
.LBB0_13:
	s_wait_alu 0xfffe
	s_or_b32 exec_lo, exec_lo, s1
	global_wb scope:SCOPE_SE
	s_wait_dscnt 0x0
	s_barrier_signal -1
	s_barrier_wait -1
	global_inv scope:SCOPE_SE
	global_load_b32 v58, v[54:55], off offset:5040
	v_lshlrev_b32_e32 v65, 2, v100
	s_add_nc_u64 s[8:9], s[8:9], 0x13b0
	s_clause 0x6
	global_load_b32 v59, v65, s[8:9] offset:252
	global_load_b32 v60, v65, s[8:9] offset:504
	;; [unrolled: 1-line block ×7, first 2 shown]
	ds_load_2addr_b32 v[54:55], v72 offset1:63
	s_wait_dscnt 0x0
	v_lshrrev_b32_e32 v68, 16, v54
	s_wait_loadcnt 0x7
	v_lshrrev_b32_e32 v62, 16, v58
	s_delay_alu instid0(VALU_DEP_1) | instskip(NEXT) | instid1(VALU_DEP_3)
	v_mul_f16_e32 v69, v54, v62
	v_mul_f16_e32 v62, v68, v62
	s_delay_alu instid0(VALU_DEP_2) | instskip(NEXT) | instid1(VALU_DEP_2)
	v_fmac_f16_e32 v69, v68, v58
	v_fma_f16 v54, v54, v58, -v62
	s_wait_loadcnt 0x6
	v_lshrrev_b32_e32 v62, 16, v59
	v_lshrrev_b32_e32 v58, 16, v55
	s_delay_alu instid0(VALU_DEP_3) | instskip(NEXT) | instid1(VALU_DEP_3)
	v_pack_b32_f16 v54, v54, v69
	v_mul_f16_e64 v144, v55, v62
	s_delay_alu instid0(VALU_DEP_3)
	v_mul_f16_e32 v68, v58, v62
	ds_store_b32 v72, v54
	v_fmac_f16_e64 v144, v58, v59
	s_clause 0x5
	global_load_b32 v58, v65, s[8:9] offset:2520
	global_load_b32 v62, v65, s[8:9] offset:2772
	;; [unrolled: 1-line block ×6, first 2 shown]
	v_fma_f16 v68, v55, v59, -v68
	v_add_nc_u32_e32 v59, 0x800, v72
	global_load_b32 v233, v65, s[8:9] offset:2268
	v_pack_b32_f16 v68, v68, v144
	ds_load_2addr_b32 v[54:55], v59 offset0:118 offset1:181
	s_wait_dscnt 0x0
	v_lshrrev_b32_e32 v235, 16, v54
	s_wait_loadcnt 0x6
	v_lshrrev_b32_e32 v234, 16, v58
	s_delay_alu instid0(VALU_DEP_1) | instskip(NEXT) | instid1(VALU_DEP_3)
	v_mul_f16_e64 v236, v54, v234
	v_mul_f16_e64 v234, v235, v234
	s_delay_alu instid0(VALU_DEP_2) | instskip(NEXT) | instid1(VALU_DEP_2)
	v_fmac_f16_e64 v236, v235, v58
	v_fma_f16 v234, v54, v58, -v234
	s_wait_loadcnt 0x5
	v_lshrrev_b32_e32 v54, 16, v62
	v_lshrrev_b32_e32 v58, 16, v55
	s_delay_alu instid0(VALU_DEP_2) | instskip(NEXT) | instid1(VALU_DEP_2)
	v_mul_f16_e64 v237, v55, v54
	v_mul_f16_e64 v235, v58, v54
	s_delay_alu instid0(VALU_DEP_2) | instskip(NEXT) | instid1(VALU_DEP_2)
	v_fmac_f16_e64 v237, v58, v62
	v_fma_f16 v235, v55, v62, -v235
	ds_load_2addr_b32 v[54:55], v72 offset0:126 offset1:189
	v_lshrrev_b32_e32 v58, 16, v60
	s_wait_dscnt 0x0
	v_lshrrev_b32_e32 v62, 16, v54
	s_delay_alu instid0(VALU_DEP_2) | instskip(NEXT) | instid1(VALU_DEP_2)
	v_mul_f16_e64 v238, v54, v58
	v_mul_f16_e32 v58, v62, v58
	s_delay_alu instid0(VALU_DEP_2) | instskip(SKIP_1) | instid1(VALU_DEP_3)
	v_fmac_f16_e64 v238, v62, v60
	v_add_nc_u32_e32 v62, 0xa00, v72
	v_fma_f16 v239, v54, v60, -v58
	v_lshrrev_b32_e32 v54, 16, v61
	v_lshrrev_b32_e32 v58, 16, v55
	s_delay_alu instid0(VALU_DEP_3) | instskip(NEXT) | instid1(VALU_DEP_3)
	v_pack_b32_f16 v144, v239, v238
	v_mul_f16_e64 v240, v55, v54
	s_delay_alu instid0(VALU_DEP_3) | instskip(NEXT) | instid1(VALU_DEP_2)
	v_mul_f16_e32 v60, v58, v54
	v_fmac_f16_e64 v240, v58, v61
	s_delay_alu instid0(VALU_DEP_2)
	v_fma_f16 v241, v55, v61, -v60
	ds_load_2addr_b32 v[54:55], v62 offset0:116 offset1:179
	s_wait_loadcnt 0x4
	v_lshrrev_b32_e32 v58, 16, v69
	s_wait_dscnt 0x0
	v_lshrrev_b32_e32 v60, 16, v54
	s_delay_alu instid0(VALU_DEP_2) | instskip(NEXT) | instid1(VALU_DEP_2)
	v_mul_f16_e64 v242, v54, v58
	v_mul_f16_e32 v58, v60, v58
	s_delay_alu instid0(VALU_DEP_2) | instskip(NEXT) | instid1(VALU_DEP_2)
	v_fmac_f16_e64 v242, v60, v69
	v_fma_f16 v69, v54, v69, -v58
	s_wait_loadcnt 0x3
	v_lshrrev_b32_e32 v54, 16, v197
	v_lshrrev_b32_e32 v58, 16, v55
	s_delay_alu instid0(VALU_DEP_3) | instskip(NEXT) | instid1(VALU_DEP_3)
	v_pack_b32_f16 v69, v69, v242
	v_mul_f16_e64 v243, v55, v54
	s_delay_alu instid0(VALU_DEP_3) | instskip(SKIP_1) | instid1(VALU_DEP_3)
	v_mul_f16_e32 v60, v58, v54
	v_add_nc_u32_e32 v54, 0x200, v72
	v_fmac_f16_e64 v243, v58, v197
	s_delay_alu instid0(VALU_DEP_3) | instskip(SKIP_4) | instid1(VALU_DEP_2)
	v_fma_f16 v244, v55, v197, -v60
	ds_load_2addr_b32 v[60:61], v54 offset0:124 offset1:187
	v_lshrrev_b32_e32 v55, 16, v63
	s_wait_dscnt 0x0
	v_lshrrev_b32_e32 v58, 16, v60
	v_mul_f16_e64 v245, v60, v55
	s_delay_alu instid0(VALU_DEP_2) | instskip(NEXT) | instid1(VALU_DEP_2)
	v_mul_f16_e32 v55, v58, v55
	v_fmac_f16_e64 v245, v58, v63
	v_lshrrev_b32_e32 v58, 16, v61
	s_delay_alu instid0(VALU_DEP_3) | instskip(SKIP_1) | instid1(VALU_DEP_1)
	v_fma_f16 v246, v60, v63, -v55
	v_lshrrev_b32_e32 v55, 16, v64
	v_mul_f16_e32 v60, v58, v55
	v_mul_f16_e64 v247, v61, v55
	v_add_nc_u32_e32 v55, 0xc00, v72
	s_delay_alu instid0(VALU_DEP_3) | instskip(NEXT) | instid1(VALU_DEP_3)
	v_fma_f16 v248, v61, v64, -v60
	v_fmac_f16_e64 v247, v58, v64
	ds_load_2addr_b32 v[60:61], v55 offset0:114 offset1:177
	s_wait_loadcnt 0x2
	v_lshrrev_b32_e32 v58, 16, v231
	s_wait_dscnt 0x0
	v_lshrrev_b32_e32 v63, 16, v60
	s_delay_alu instid0(VALU_DEP_2) | instskip(NEXT) | instid1(VALU_DEP_2)
	v_mul_f16_e64 v249, v60, v58
	v_mul_f16_e32 v58, v63, v58
	s_delay_alu instid0(VALU_DEP_2) | instskip(NEXT) | instid1(VALU_DEP_2)
	v_fmac_f16_e64 v249, v63, v231
	v_fma_f16 v231, v60, v231, -v58
	s_wait_loadcnt 0x1
	v_lshrrev_b32_e32 v58, 16, v232
	v_lshrrev_b32_e32 v60, 16, v61
	s_delay_alu instid0(VALU_DEP_2) | instskip(NEXT) | instid1(VALU_DEP_2)
	v_mul_f16_e64 v250, v61, v58
	v_mul_f16_e32 v63, v60, v58
	v_lshrrev_b32_e32 v58, 16, v66
	s_delay_alu instid0(VALU_DEP_3) | instskip(SKIP_1) | instid1(VALU_DEP_4)
	v_fmac_f16_e64 v250, v60, v232
	v_add_nc_u32_e32 v60, 0x400, v72
	v_fma_f16 v251, v61, v232, -v63
	ds_load_2addr_b32 v[63:64], v60 offset0:122 offset1:185
	s_wait_dscnt 0x0
	v_lshrrev_b32_e32 v61, 16, v63
	v_mul_f16_e64 v232, v63, v58
	s_delay_alu instid0(VALU_DEP_2) | instskip(NEXT) | instid1(VALU_DEP_2)
	v_mul_f16_e32 v58, v61, v58
	v_fmac_f16_e64 v232, v61, v66
	v_lshrrev_b32_e32 v61, 16, v64
	s_delay_alu instid0(VALU_DEP_3) | instskip(SKIP_1) | instid1(VALU_DEP_2)
	v_fma_f16 v66, v63, v66, -v58
	v_lshrrev_b32_e32 v58, 16, v67
	v_pack_b32_f16 v66, v66, v232
	s_delay_alu instid0(VALU_DEP_2) | instskip(SKIP_1) | instid1(VALU_DEP_2)
	v_mul_f16_e32 v63, v61, v58
	v_mul_f16_e64 v252, v64, v58
	v_fma_f16 v253, v64, v67, -v63
	s_delay_alu instid0(VALU_DEP_2)
	v_fmac_f16_e64 v252, v61, v67
	s_clause 0x4
	global_load_b32 v58, v65, s[8:9] offset:4032
	global_load_b32 v67, v65, s[8:9] offset:4284
	;; [unrolled: 1-line block ×5, first 2 shown]
	v_add_nc_u32_e32 v61, 0xe00, v72
	ds_store_2addr_b32 v72, v68, v144 offset0:63 offset1:126
	v_pack_b32_f16 v68, v235, v237
	ds_load_2addr_b32 v[63:64], v61 offset0:112 offset1:175
	ds_store_2addr_b32 v59, v68, v69 offset0:181 offset1:244
	v_pack_b32_f16 v68, v241, v240
	v_pack_b32_f16 v69, v246, v245
	ds_store_2addr_b32 v72, v68, v69 offset0:189 offset1:252
	v_pack_b32_f16 v68, v244, v243
	v_pack_b32_f16 v69, v231, v249
	ds_store_2addr_b32 v55, v68, v69 offset0:51 offset1:114
	v_pack_b32_f16 v68, v248, v247
	s_wait_dscnt 0x3
	v_lshrrev_b32_e32 v76, 16, v63
	ds_store_2addr_b32 v60, v68, v66 offset0:59 offset1:122
	v_pack_b32_f16 v66, v251, v250
	s_wait_loadcnt 0x4
	v_lshrrev_b32_e32 v197, 16, v58
	s_delay_alu instid0(VALU_DEP_1) | instskip(SKIP_1) | instid1(VALU_DEP_2)
	v_mul_f16_e64 v78, v63, v197
	v_mul_f16_e64 v197, v76, v197
	v_fmac_f16_e32 v78, v76, v58
	s_delay_alu instid0(VALU_DEP_2) | instskip(SKIP_3) | instid1(VALU_DEP_3)
	v_fma_f16 v76, v63, v58, -v197
	s_wait_loadcnt 0x3
	v_lshrrev_b32_e32 v58, 16, v67
	v_lshrrev_b32_e32 v63, 16, v64
	v_pack_b32_f16 v68, v76, v78
	s_delay_alu instid0(VALU_DEP_3) | instskip(NEXT) | instid1(VALU_DEP_3)
	v_mul_f16_e32 v80, v64, v58
	v_mul_f16_e64 v197, v63, v58
	v_add_nc_u32_e32 v58, 0x600, v72
	ds_store_2addr_b32 v55, v66, v68 offset0:177 offset1:240
	v_fmac_f16_e32 v80, v63, v67
	v_fma_f16 v83, v64, v67, -v197
	ds_load_2addr_b32 v[63:64], v58 offset0:120 offset1:183
	s_wait_loadcnt 0x0
	v_lshrrev_b32_e32 v67, 16, v65
	v_pack_b32_f16 v66, v253, v252
	s_wait_dscnt 0x0
	v_lshrrev_b32_e32 v197, 16, v63
	s_delay_alu instid0(VALU_DEP_3) | instskip(NEXT) | instid1(VALU_DEP_2)
	v_mul_f16_e32 v85, v63, v67
	v_mul_f16_e64 v67, v197, v67
	s_delay_alu instid0(VALU_DEP_2) | instskip(NEXT) | instid1(VALU_DEP_2)
	v_fmac_f16_e64 v85, v197, v65
	v_fma_f16 v65, v63, v65, -v67
	v_lshrrev_b32_e32 v63, 16, v233
	v_lshrrev_b32_e32 v67, 16, v64
	s_delay_alu instid0(VALU_DEP_3) | instskip(NEXT) | instid1(VALU_DEP_3)
	v_pack_b32_f16 v65, v65, v85
	v_mul_f16_e32 v87, v64, v63
	s_delay_alu instid0(VALU_DEP_3)
	v_mul_f16_e64 v197, v67, v63
	ds_store_2addr_b32 v60, v66, v65 offset0:185 offset1:248
	v_fmac_f16_e64 v87, v67, v233
	v_fma_f16 v89, v64, v233, -v197
	v_add_nc_u32_e32 v197, 0x1000, v72
	v_lshrrev_b32_e32 v67, 16, v254
	v_pack_b32_f16 v65, v83, v80
	ds_load_2addr_b32 v[63:64], v197 offset0:110 offset1:173
	s_wait_dscnt 0x0
	v_lshrrev_b32_e32 v233, 16, v63
	v_mul_f16_e32 v91, v63, v67
	s_delay_alu instid0(VALU_DEP_2) | instskip(NEXT) | instid1(VALU_DEP_2)
	v_mul_f16_e64 v67, v233, v67
	v_fmac_f16_e64 v91, v233, v254
	v_lshrrev_b32_e32 v233, 16, v64
	s_delay_alu instid0(VALU_DEP_3) | instskip(SKIP_1) | instid1(VALU_DEP_2)
	v_fma_f16 v63, v63, v254, -v67
	v_lshrrev_b32_e32 v67, 16, v255
	v_pack_b32_f16 v63, v63, v91
	s_delay_alu instid0(VALU_DEP_2)
	v_mul_f16_e64 v254, v233, v67
	v_mul_f16_e32 v67, v64, v67
	ds_store_2addr_b32 v197, v65, v63 offset0:47 offset1:110
	v_fma_f16 v64, v64, v255, -v254
	v_fmac_f16_e64 v67, v233, v255
	v_pack_b32_f16 v63, v234, v236
	v_pack_b32_f16 v65, v89, v87
	ds_store_2addr_b32 v59, v65, v63 offset0:55 offset1:118
	v_pack_b32_f16 v63, v64, v67
	ds_store_b32 v72, v63 offset:4788
	global_wb scope:SCOPE_SE
	s_wait_dscnt 0x0
	s_barrier_signal -1
	s_barrier_wait -1
	global_inv scope:SCOPE_SE
	ds_load_2addr_b32 v[63:64], v72 offset1:63
	ds_load_2addr_b32 v[65:66], v59 offset0:118 offset1:181
	ds_load_2addr_b32 v[231:232], v72 offset0:126 offset1:189
	;; [unrolled: 1-line block ×9, first 2 shown]
	global_wb scope:SCOPE_SE
	s_wait_dscnt 0x0
	s_barrier_signal -1
	s_barrier_wait -1
	global_inv scope:SCOPE_SE
	v_pk_add_f16 v68, v63, v65 neg_lo:[0,1] neg_hi:[0,1]
	v_pk_add_f16 v65, v64, v66 neg_lo:[0,1] neg_hi:[0,1]
	;; [unrolled: 1-line block ×3, first 2 shown]
	s_delay_alu instid0(VALU_DEP_3) | instskip(NEXT) | instid1(VALU_DEP_3)
	v_pk_fma_f16 v67, v63, 2.0, v68 op_sel_hi:[1,0,1] neg_lo:[0,0,1] neg_hi:[0,0,1]
	v_pk_fma_f16 v64, v64, 2.0, v65 op_sel_hi:[1,0,1] neg_lo:[0,0,1] neg_hi:[0,0,1]
	ds_store_b64 v70, v[67:68]
	ds_store_b64 v129, v[64:65]
	v_pk_add_f16 v64, v231, v233 neg_lo:[0,1] neg_hi:[0,1]
	v_pk_add_f16 v68, v243, v245 neg_lo:[0,1] neg_hi:[0,1]
	v_pk_add_f16 v70, v244, v246 neg_lo:[0,1] neg_hi:[0,1]
	v_pk_fma_f16 v65, v240, 2.0, v66 op_sel_hi:[1,0,1] neg_lo:[0,0,1] neg_hi:[0,0,1]
	s_delay_alu instid0(VALU_DEP_4) | instskip(NEXT) | instid1(VALU_DEP_4)
	v_pk_fma_f16 v63, v231, 2.0, v64 op_sel_hi:[1,0,1] neg_lo:[0,0,1] neg_hi:[0,0,1]
	v_pk_fma_f16 v67, v243, 2.0, v68 op_sel_hi:[1,0,1] neg_lo:[0,0,1] neg_hi:[0,0,1]
	s_delay_alu instid0(VALU_DEP_4) | instskip(SKIP_2) | instid1(VALU_DEP_1)
	v_pk_fma_f16 v69, v244, 2.0, v70 op_sel_hi:[1,0,1] neg_lo:[0,0,1] neg_hi:[0,0,1]
	ds_store_b64 v128, v[63:64]
	v_pk_add_f16 v64, v232, v234 neg_lo:[0,1] neg_hi:[0,1]
	v_pk_fma_f16 v63, v232, 2.0, v64 op_sel_hi:[1,0,1] neg_lo:[0,0,1] neg_hi:[0,0,1]
	ds_store_b64 v127, v[63:64]
	v_pk_add_f16 v64, v235, v237 neg_lo:[0,1] neg_hi:[0,1]
	s_delay_alu instid0(VALU_DEP_1) | instskip(SKIP_2) | instid1(VALU_DEP_1)
	v_pk_fma_f16 v63, v235, 2.0, v64 op_sel_hi:[1,0,1] neg_lo:[0,0,1] neg_hi:[0,0,1]
	ds_store_b64 v126, v[63:64]
	v_pk_add_f16 v64, v236, v238 neg_lo:[0,1] neg_hi:[0,1]
	v_pk_fma_f16 v63, v236, 2.0, v64 op_sel_hi:[1,0,1] neg_lo:[0,0,1] neg_hi:[0,0,1]
	ds_store_b64 v125, v[63:64]
	v_pk_add_f16 v64, v239, v241 neg_lo:[0,1] neg_hi:[0,1]
	s_delay_alu instid0(VALU_DEP_1)
	v_pk_fma_f16 v63, v239, 2.0, v64 op_sel_hi:[1,0,1] neg_lo:[0,0,1] neg_hi:[0,0,1]
	ds_store_b64 v124, v[63:64]
	ds_store_b64 v56, v[65:66]
	;; [unrolled: 1-line block ×4, first 2 shown]
	global_wb scope:SCOPE_SE
	s_wait_dscnt 0x0
	s_barrier_signal -1
	s_barrier_wait -1
	global_inv scope:SCOPE_SE
	ds_load_2addr_b32 v[56:57], v59 offset0:118 offset1:181
	ds_load_2addr_b32 v[62:63], v62 offset0:116 offset1:179
	;; [unrolled: 1-line block ×4, first 2 shown]
	s_wait_dscnt 0x3
	v_lshrrev_b32_e32 v53, 16, v57
	v_mul_f16_e64 v69, v156, v57
	s_wait_dscnt 0x2
	v_lshrrev_b32_e32 v76, 16, v63
	v_lshrrev_b32_e32 v68, 16, v56
	v_mul_f16_e64 v85, v142, v62
	v_mul_f16_e64 v70, v156, v53
	v_fma_f16 v53, v123, v53, -v69
	v_lshrrev_b32_e32 v69, 16, v62
	v_mul_f16_e32 v80, v122, v76
	v_mul_f16_e64 v78, v142, v68
	v_fmac_f16_e32 v70, v123, v57
	v_mul_f16_e32 v57, v122, v63
	v_mul_f16_e64 v83, v142, v69
	v_fmac_f16_e32 v80, v121, v63
	s_wait_dscnt 0x1
	v_lshrrev_b32_e32 v63, 16, v64
	v_fmac_f16_e32 v78, v115, v56
	v_fma_f16 v76, v121, v76, -v57
	v_lshrrev_b32_e32 v57, 16, v65
	v_fmac_f16_e32 v83, v115, v62
	v_mul_f16_e32 v62, v119, v65
	v_mul_f16_e64 v89, v142, v63
	v_mul_f16_e64 v56, v142, v56
	v_mul_f16_e32 v87, v119, v57
	s_wait_dscnt 0x0
	v_lshrrev_b32_e32 v91, 16, v66
	v_fma_f16 v62, v120, v57, -v62
	v_fmac_f16_e32 v89, v115, v64
	v_lshrrev_b32_e32 v57, 16, v67
	v_fmac_f16_e32 v87, v120, v65
	v_mul_f16_e64 v65, v142, v64
	v_mul_f16_e32 v64, v117, v67
	v_fma_f16 v68, v115, v68, -v56
	v_mul_f16_e32 v117, v117, v57
	v_mul_f16_e64 v119, v142, v91
	v_fma_f16 v63, v115, v63, -v65
	v_fma_f16 v64, v118, v57, -v64
	ds_load_2addr_b32 v[56:57], v197 offset0:110 offset1:173
	v_fmac_f16_e32 v117, v118, v67
	v_mul_f16_e64 v67, v142, v66
	v_fmac_f16_e32 v119, v115, v66
	v_fma_f16 v66, v115, v69, -v85
	s_delay_alu instid0(VALU_DEP_3) | instskip(SKIP_4) | instid1(VALU_DEP_3)
	v_fma_f16 v67, v115, v91, -v67
	s_wait_dscnt 0x0
	v_lshrrev_b32_e32 v69, 16, v56
	v_mul_f16_e64 v65, v142, v56
	v_lshrrev_b32_e32 v85, 16, v57
	v_mul_f16_e64 v91, v142, v69
	s_delay_alu instid0(VALU_DEP_3) | instskip(NEXT) | instid1(VALU_DEP_3)
	v_fma_f16 v65, v115, v69, -v65
	v_mul_f16_e32 v69, v116, v85
	v_mul_f16_e32 v116, v116, v57
	s_delay_alu instid0(VALU_DEP_4) | instskip(NEXT) | instid1(VALU_DEP_3)
	v_fmac_f16_e32 v91, v115, v56
	v_fmac_f16_e32 v69, v113, v57
	ds_load_2addr_b32 v[56:57], v72 offset1:63
	v_fma_f16 v85, v113, v85, -v116
	s_wait_dscnt 0x0
	v_lshrrev_b32_e32 v115, 16, v56
	v_sub_f16_e32 v78, v56, v78
	v_sub_f16_e32 v70, v57, v70
	v_lshrrev_b32_e32 v113, 16, v57
	s_delay_alu instid0(VALU_DEP_4) | instskip(NEXT) | instid1(VALU_DEP_3)
	v_sub_f16_e32 v68, v115, v68
	v_fma_f16 v118, v57, 2.0, -v70
	s_delay_alu instid0(VALU_DEP_3) | instskip(NEXT) | instid1(VALU_DEP_3)
	v_sub_f16_e32 v53, v113, v53
	v_fma_f16 v115, v115, 2.0, -v68
	v_pack_b32_f16 v68, v78, v68
	v_fma_f16 v78, v56, 2.0, -v78
	ds_load_2addr_b32 v[56:57], v72 offset0:126 offset1:189
	v_fma_f16 v120, v113, 2.0, -v53
	v_pack_b32_f16 v53, v70, v53
	s_wait_dscnt 0x0
	v_sub_f16_e32 v83, v56, v83
	v_sub_f16_e32 v80, v57, v80
	v_lshrrev_b32_e32 v70, 16, v56
	v_lshrrev_b32_e32 v121, 16, v57
	s_delay_alu instid0(VALU_DEP_4) | instskip(NEXT) | instid1(VALU_DEP_4)
	v_fma_f16 v122, v56, 2.0, -v83
	v_fma_f16 v123, v57, 2.0, -v80
	ds_load_2addr_b32 v[56:57], v54 offset0:124 offset1:187
	s_wait_dscnt 0x0
	v_sub_f16_e32 v89, v56, v89
	v_sub_f16_e32 v87, v57, v87
	v_lshrrev_b32_e32 v124, 16, v56
	v_lshrrev_b32_e32 v125, 16, v57
	s_delay_alu instid0(VALU_DEP_4) | instskip(NEXT) | instid1(VALU_DEP_4)
	v_fma_f16 v126, v56, 2.0, -v89
	v_fma_f16 v127, v57, 2.0, -v87
	ds_load_2addr_b32 v[56:57], v60 offset0:122 offset1:185
	v_sub_f16_e32 v63, v124, v63
	v_sub_f16_e32 v62, v125, v62
	s_wait_dscnt 0x0
	v_sub_f16_e32 v119, v56, v119
	v_sub_f16_e32 v117, v57, v117
	v_lshrrev_b32_e32 v128, 16, v56
	v_lshrrev_b32_e32 v129, 16, v57
	s_delay_alu instid0(VALU_DEP_4) | instskip(NEXT) | instid1(VALU_DEP_4)
	v_fma_f16 v142, v56, 2.0, -v119
	v_fma_f16 v144, v57, 2.0, -v117
	ds_load_2addr_b32 v[56:57], v58 offset0:120 offset1:183
	v_sub_f16_e64 v64, v129, v64
	v_sub_f16_e64 v67, v128, v67
	global_wb scope:SCOPE_SE
	s_wait_dscnt 0x0
	s_barrier_signal -1
	s_barrier_wait -1
	global_inv scope:SCOPE_SE
	v_sub_f16_e32 v116, v57, v69
	v_sub_f16_e32 v58, v56, v91
	v_lshrrev_b32_e32 v91, 16, v57
	v_lshrrev_b32_e32 v69, 16, v56
	s_delay_alu instid0(VALU_DEP_4) | instskip(SKIP_2) | instid1(VALU_DEP_4)
	v_fma_f16 v113, v57, 2.0, -v116
	v_sub_f16_e32 v57, v70, v66
	v_fma_f16 v56, v56, 2.0, -v58
	v_sub_f16_e32 v65, v69, v65
	s_delay_alu instid0(VALU_DEP_3) | instskip(SKIP_1) | instid1(VALU_DEP_3)
	v_fma_f16 v66, v70, 2.0, -v57
	v_sub_f16_e32 v70, v121, v76
	v_fma_f16 v69, v69, 2.0, -v65
	v_pack_b32_f16 v58, v58, v65
	v_pack_b32_f16 v65, v78, v115
	;; [unrolled: 1-line block ×3, first 2 shown]
	v_fma_f16 v76, v121, 2.0, -v70
	v_pack_b32_f16 v70, v80, v70
	v_fma_f16 v80, v124, 2.0, -v63
	v_pack_b32_f16 v63, v89, v63
	;; [unrolled: 2-line block ×3, first 2 shown]
	v_sub_f16_e32 v117, v91, v85
	v_fma_f16 v83, v125, 2.0, -v62
	v_pack_b32_f16 v62, v87, v62
	v_fma_f16 v87, v128, 2.0, -v67
	v_pack_b32_f16 v78, v118, v120
	;; [unrolled: 2-line block ×3, first 2 shown]
	v_pack_b32_f16 v76, v123, v76
	v_pack_b32_f16 v67, v119, v67
	;; [unrolled: 1-line block ×9, first 2 shown]
	ds_store_2addr_b32 v130, v65, v68 offset1:2
	ds_store_2addr_b32 v131, v78, v53 offset1:2
	;; [unrolled: 1-line block ×10, first 2 shown]
	global_wb scope:SCOPE_SE
	s_wait_dscnt 0x0
	s_barrier_signal -1
	s_barrier_wait -1
	global_inv scope:SCOPE_SE
	ds_load_2addr_b32 v[57:58], v72 offset1:63
	ds_load_2addr_b32 v[69:70], v60 offset0:164 offset1:227
	ds_load_2addr_b32 v[67:68], v55 offset0:72 offset1:135
	;; [unrolled: 1-line block ×8, first 2 shown]
	s_and_saveexec_b32 s1, vcc_lo
	s_cbranch_execz .LBB0_15
; %bb.14:
	ds_load_b32 v113, v72 offset:1512
	ds_load_b32 v116, v72 offset:3192
	;; [unrolled: 1-line block ×3, first 2 shown]
	s_wait_dscnt 0x2
	v_lshrrev_b32_e32 v115, 16, v113
	s_wait_dscnt 0x1
	v_lshrrev_b32_e32 v117, 16, v116
	s_wait_dscnt 0x0
	v_lshrrev_b32_e32 v192, 16, v188
.LBB0_15:
	s_wait_alu 0xfffe
	s_or_b32 exec_lo, exec_lo, s1
	s_wait_dscnt 0x7
	v_lshrrev_b32_e32 v78, 16, v69
	s_wait_dscnt 0x6
	v_lshrrev_b32_e32 v80, 16, v67
	v_lshrrev_b32_e32 v85, 16, v70
	v_mul_f16_e64 v128, v164, v69
	v_lshrrev_b32_e32 v87, 16, v68
	v_mul_f16_e64 v126, v164, v78
	v_mul_f16_e64 v130, v163, v80
	s_wait_dscnt 0x4
	v_lshrrev_b32_e32 v91, 16, v65
	v_fma_f16 v78, v29, v78, -v128
	v_mul_f16_e64 v128, v175, v85
	v_fmac_f16_e32 v126, v29, v69
	v_mul_f16_e64 v69, v163, v67
	s_wait_dscnt 0x3
	v_lshrrev_b32_e32 v118, 16, v63
	v_fmac_f16_e64 v130, v30, v67
	v_mul_f16_e64 v67, v175, v70
	v_fmac_f16_e64 v128, v158, v70
	v_fma_f16 v69, v30, v80, -v69
	v_mul_f16_e64 v80, v174, v87
	v_mul_f16_e64 v70, v174, v68
	v_lshrrev_b32_e32 v120, 16, v66
	v_fma_f16 v67, v158, v85, -v67
	v_mul_f16_e64 v85, v173, v91
	v_fmac_f16_e64 v80, v172, v68
	v_mul_f16_e64 v68, v173, v65
	v_fma_f16 v70, v172, v87, -v70
	v_mul_f16_e64 v87, v171, v118
	v_lshrrev_b32_e32 v121, 16, v64
	s_wait_dscnt 0x1
	v_lshrrev_b32_e32 v123, 16, v61
	v_fmac_f16_e64 v85, v157, v65
	v_mul_f16_e64 v65, v171, v63
	v_fma_f16 v68, v157, v91, -v68
	v_mul_f16_e64 v91, v170, v120
	v_fmac_f16_e64 v87, v169, v63
	v_mul_f16_e64 v63, v170, v66
	s_wait_dscnt 0x0
	v_lshrrev_b32_e32 v124, 16, v59
	v_fma_f16 v65, v169, v118, -v65
	v_mul_f16_e64 v118, v168, v121
	v_fmac_f16_e32 v91, v31, v66
	v_mul_f16_e64 v66, v168, v64
	v_fma_f16 v31, v31, v120, -v63
	v_mul_f16_e64 v63, v164, v123
	v_lshrrev_b32_e32 v127, 16, v62
	v_lshrrev_b32_e32 v129, 16, v60
	v_fmac_f16_e32 v118, v32, v64
	v_mul_f16_e64 v64, v164, v61
	v_fma_f16 v32, v32, v121, -v66
	v_mul_f16_e64 v66, v163, v124
	v_fmac_f16_e32 v63, v29, v61
	v_mul_f16_e64 v61, v163, v59
	v_fma_f16 v29, v29, v123, -v64
	v_mul_f16_e64 v64, v147, v127
	;; [unrolled: 4-line block ×3, first 2 shown]
	v_fmac_f16_e64 v64, v146, v62
	v_mul_f16_e64 v62, v152, v60
	v_lshrrev_b32_e32 v76, 16, v57
	v_mul_f16_e64 v120, v145, v117
	v_fmac_f16_e64 v61, v143, v60
	v_mul_f16_e64 v60, v145, v116
	v_add_f16_e32 v123, v57, v126
	v_add_f16_e32 v124, v78, v69
	v_lshrrev_b32_e32 v83, 16, v58
	v_fma_f16 v59, v146, v127, -v59
	v_fma_f16 v60, v141, v117, -v60
	v_add_f16_e64 v117, v126, v130
	v_add_f16_e64 v127, v58, v128
	v_lshrrev_b32_e32 v89, 16, v55
	v_lshrrev_b32_e32 v119, 16, v56
	v_fma_f16 v62, v143, v129, -v62
	v_fma_f16 v57, -0.5, v117, v57
	v_sub_f16_e32 v117, v78, v69
	v_add_f16_e32 v78, v76, v78
	v_fmac_f16_e32 v76, -0.5, v124
	v_sub_f16_e64 v124, v126, v130
	v_add_f16_e32 v127, v127, v80
	v_fmamk_f16 v126, v117, 0xbaee, v57
	v_add_f16_e32 v78, v78, v69
	v_add_f16_e64 v69, v128, v80
	v_fmac_f16_e32 v57, 0x3aee, v117
	v_fmamk_f16 v117, v124, 0x3aee, v76
	v_fmac_f16_e32 v76, 0xbaee, v124
	v_add_f16_e32 v124, v67, v70
	v_fmac_f16_e32 v58, -0.5, v69
	v_sub_f16_e32 v69, v67, v70
	v_add_f16_e32 v67, v83, v67
	v_sub_f16_e64 v80, v128, v80
	v_fmac_f16_e32 v83, -0.5, v124
	v_lshrrev_b32_e32 v122, 16, v53
	v_fmamk_f16 v124, v69, 0xbaee, v58
	v_add_f16_e64 v128, v67, v70
	v_add_f16_e32 v67, v85, v87
	v_fmac_f16_e32 v58, 0x3aee, v69
	v_add_f16_e32 v69, v55, v85
	v_add_f16_e32 v70, v68, v65
	v_fma_f16 v129, 0x3aee, v80, v83
	v_fma_f16 v55, -0.5, v67, v55
	v_sub_f16_e32 v67, v68, v65
	v_fmac_f16_e32 v83, 0xbaee, v80
	v_add_f16_e32 v80, v69, v87
	v_add_f16_e32 v68, v89, v68
	v_fmac_f16_e32 v89, -0.5, v70
	v_sub_f16_e32 v69, v85, v87
	v_fmamk_f16 v85, v67, 0xbaee, v55
	v_fmac_f16_e32 v55, 0x3aee, v67
	v_add_f16_e32 v67, v91, v118
	v_add_f16_e32 v65, v68, v65
	v_fmamk_f16 v87, v69, 0x3aee, v89
	v_add_f16_e32 v68, v56, v91
	v_fmac_f16_e32 v89, 0xbaee, v69
	v_add_f16_e32 v69, v31, v32
	v_fmac_f16_e32 v56, -0.5, v67
	v_sub_f16_e32 v67, v31, v32
	v_add_f16_e32 v31, v119, v31
	v_add_f16_e64 v123, v123, v130
	v_add_f16_e64 v130, v68, v118
	v_fmac_f16_e32 v119, -0.5, v69
	v_sub_f16_e32 v68, v91, v118
	v_add_f16_e32 v31, v31, v32
	v_add_f16_e32 v32, v63, v66
	v_fmamk_f16 v91, v67, 0xbaee, v56
	v_fmac_f16_e32 v56, 0x3aee, v67
	v_fmamk_f16 v118, v68, 0x3aee, v119
	v_add_f16_e32 v67, v53, v63
	v_fmac_f16_e32 v119, 0xbaee, v68
	v_add_f16_e32 v68, v29, v30
	v_fma_f16 v32, -0.5, v32, v53
	v_sub_f16_e32 v53, v29, v30
	v_add_f16_e32 v29, v122, v29
	v_lshrrev_b32_e32 v125, 16, v54
	v_mul_f16_e64 v121, v151, v192
	v_fmac_f16_e32 v122, -0.5, v68
	v_sub_f16_e32 v63, v63, v66
	v_add_f16_e32 v29, v29, v30
	v_add_f16_e32 v30, v64, v61
	v_fmac_f16_e64 v120, v141, v116
	v_mul_f16_e64 v116, v151, v188
	v_fmac_f16_e64 v121, v140, v188
	v_add_f16_e64 v131, v67, v66
	v_fmamk_f16 v66, v53, 0xbaee, v32
	v_fmac_f16_e32 v32, 0x3aee, v53
	v_fmamk_f16 v53, v63, 0x3aee, v122
	v_add_f16_e32 v67, v54, v64
	v_fmac_f16_e32 v122, 0xbaee, v63
	v_add_f16_e32 v63, v59, v62
	v_fmac_f16_e32 v54, -0.5, v30
	v_sub_f16_e32 v30, v59, v62
	v_add_f16_e32 v59, v125, v59
	v_fma_f16 v116, v140, v192, -v116
	v_add_f16_e64 v132, v67, v61
	v_fmac_f16_e32 v125, -0.5, v63
	v_sub_f16_e32 v61, v64, v61
	v_fmamk_f16 v63, v30, 0xbaee, v54
	v_fmac_f16_e32 v54, 0x3aee, v30
	v_add_f16_e32 v30, v59, v62
	v_add_f16_e32 v59, v121, v120
	v_fmamk_f16 v62, v61, 0x3aee, v125
	v_fmac_f16_e32 v125, 0xbaee, v61
	v_add_f16_e32 v61, v116, v60
	v_add_f16_e32 v64, v113, v120
	v_fmac_f16_e32 v113, -0.5, v59
	v_sub_f16_e32 v59, v60, v116
	v_add_f16_e32 v60, v60, v115
	v_pack_b32_f16 v57, v57, v76
	v_fmac_f16_e32 v115, -0.5, v61
	v_sub_f16_e32 v61, v120, v121
	v_fmamk_f16 v70, v59, 0xbaee, v113
	v_fmac_f16_e32 v113, 0x3aee, v59
	v_add_f16_e32 v68, v116, v60
	v_pack_b32_f16 v59, v123, v78
	v_pack_b32_f16 v60, v126, v117
	global_wb scope:SCOPE_SE
	s_barrier_signal -1
	s_barrier_wait -1
	global_inv scope:SCOPE_SE
	ds_store_2addr_b32 v155, v59, v60 offset1:4
	ds_store_b32 v155, v57 offset:32
	v_pack_b32_f16 v57, v127, v128
	v_pack_b32_f16 v59, v124, v129
	;; [unrolled: 1-line block ×3, first 2 shown]
	v_fmamk_f16 v69, v61, 0x3aee, v115
	v_fmac_f16_e32 v115, 0xbaee, v61
	v_pack_b32_f16 v60, v80, v65
	v_pack_b32_f16 v61, v85, v87
	;; [unrolled: 1-line block ×3, first 2 shown]
	v_add_f16_e32 v67, v121, v64
	v_pack_b32_f16 v31, v130, v31
	v_pack_b32_f16 v64, v91, v118
	ds_store_2addr_b32 v154, v57, v59 offset1:4
	ds_store_b32 v154, v58 offset:32
	ds_store_2addr_b32 v153, v60, v61 offset1:4
	ds_store_b32 v153, v55 offset:32
	ds_store_2addr_b32 v150, v31, v64 offset1:4
	v_pack_b32_f16 v31, v56, v119
	v_pack_b32_f16 v29, v131, v29
	;; [unrolled: 1-line block ×7, first 2 shown]
	ds_store_b32 v150, v31 offset:32
	ds_store_2addr_b32 v149, v29, v53 offset1:4
	ds_store_b32 v149, v32 offset:32
	ds_store_2addr_b32 v148, v30, v55 offset1:4
	ds_store_b32 v148, v54 offset:32
	s_and_saveexec_b32 s1, vcc_lo
	s_cbranch_execz .LBB0_17
; %bb.16:
	scratch_load_b32 v29, off, off th:TH_LOAD_LU ; 4-byte Folded Reload
	v_perm_b32 v30, v68, v67, 0x5040100
	v_perm_b32 v31, v69, v70, 0x5040100
	;; [unrolled: 1-line block ×3, first 2 shown]
	s_wait_loadcnt 0x0
	v_mul_u32_u24_e32 v29, 12, v29
	s_delay_alu instid0(VALU_DEP_1) | instskip(NEXT) | instid1(VALU_DEP_1)
	v_or_b32_e32 v29, v29, v114
	v_lshlrev_b32_e32 v29, 2, v29
	ds_store_2addr_b32 v29, v30, v31 offset1:4
	ds_store_b32 v29, v32 offset:32
.LBB0_17:
	s_wait_alu 0xfffe
	s_or_b32 exec_lo, exec_lo, s1
	v_add_nc_u32_e32 v29, 0x400, v72
	v_add_nc_u32_e32 v30, 0xc00, v72
	;; [unrolled: 1-line block ×3, first 2 shown]
	global_wb scope:SCOPE_SE
	s_wait_dscnt 0x0
	s_barrier_signal -1
	s_barrier_wait -1
	global_inv scope:SCOPE_SE
	ds_load_2addr_b32 v[53:54], v72 offset1:63
	ds_load_2addr_b32 v[65:66], v29 offset0:164 offset1:227
	ds_load_2addr_b32 v[63:64], v30 offset0:72 offset1:135
	v_add_nc_u32_e32 v29, 0xe00, v72
	v_add_nc_u32_e32 v30, 0x200, v72
	;; [unrolled: 1-line block ×3, first 2 shown]
	ds_load_2addr_b32 v[31:32], v72 offset0:126 offset1:189
	ds_load_2addr_b32 v[61:62], v55 offset0:34 offset1:97
	;; [unrolled: 1-line block ×6, first 2 shown]
	s_and_saveexec_b32 s1, vcc_lo
	s_cbranch_execz .LBB0_19
; %bb.18:
	ds_load_b32 v67, v72 offset:1512
	ds_load_b32 v70, v72 offset:3192
	ds_load_b32 v113, v72 offset:4872
	s_wait_dscnt 0x2
	v_lshrrev_b32_e32 v68, 16, v67
	s_wait_dscnt 0x1
	v_lshrrev_b32_e32 v69, 16, v70
	s_wait_dscnt 0x0
	v_lshrrev_b32_e32 v115, 16, v113
.LBB0_19:
	s_wait_alu 0xfffe
	s_or_b32 exec_lo, exec_lo, s1
	s_wait_dscnt 0x7
	v_lshrrev_b32_e32 v78, 16, v65
	s_wait_dscnt 0x6
	v_lshrrev_b32_e32 v80, 16, v63
	v_lshrrev_b32_e32 v85, 16, v66
	v_mul_f16_e64 v126, v191, v65
	v_lshrrev_b32_e32 v87, 16, v64
	v_mul_f16_e64 v122, v191, v78
	s_wait_dscnt 0x4
	v_lshrrev_b32_e32 v91, 16, v61
	v_mul_f16_e64 v127, v190, v63
	v_mul_f16_e64 v128, v189, v85
	s_wait_dscnt 0x3
	v_lshrrev_b32_e32 v114, 16, v59
	v_fmac_f16_e32 v122, v45, v65
	v_mul_f16_e64 v65, v190, v80
	v_fma_f16 v45, v45, v78, -v126
	v_mul_f16_e64 v78, v189, v66
	v_lshrrev_b32_e32 v118, 16, v60
	v_fmac_f16_e64 v128, v43, v66
	v_fmac_f16_e32 v65, v46, v63
	v_fma_f16 v46, v46, v80, -v127
	v_mul_f16_e64 v63, v187, v87
	v_fma_f16 v43, v43, v85, -v78
	v_mul_f16_e64 v78, v186, v91
	v_mul_f16_e64 v80, v186, v61
	v_lshrrev_b32_e32 v117, 16, v62
	s_wait_dscnt 0x1
	v_lshrrev_b32_e32 v120, 16, v57
	v_mul_f16_e64 v66, v187, v64
	v_fmac_f16_e32 v63, v44, v64
	v_mul_f16_e64 v64, v185, v114
	v_fmac_f16_e32 v78, v41, v61
	v_fma_f16 v41, v41, v91, -v80
	v_mul_f16_e64 v61, v185, v59
	v_mul_f16_e64 v80, v181, v118
	s_wait_dscnt 0x0
	v_lshrrev_b32_e32 v121, 16, v55
	v_lshrrev_b32_e32 v124, 16, v58
	v_fma_f16 v44, v44, v87, -v66
	v_fmac_f16_e32 v64, v42, v59
	v_mul_f16_e64 v59, v183, v117
	v_mul_f16_e64 v66, v183, v62
	v_fma_f16 v42, v42, v114, -v61
	v_mul_f16_e64 v61, v181, v60
	v_fmac_f16_e32 v80, v40, v60
	v_mul_f16_e64 v60, v184, v120
	v_lshrrev_b32_e32 v125, 16, v56
	v_fmac_f16_e32 v59, v39, v62
	v_fma_f16 v39, v39, v117, -v66
	v_fma_f16 v40, v40, v118, -v61
	v_mul_f16_e64 v61, v184, v57
	v_mul_f16_e64 v62, v182, v121
	;; [unrolled: 1-line block ×3, first 2 shown]
	v_fmac_f16_e32 v60, v37, v57
	v_mul_f16_e64 v57, v180, v124
	v_fma_f16 v61, v37, v120, -v61
	v_fmac_f16_e32 v62, v38, v55
	v_fma_f16 v55, v38, v121, -v66
	v_mul_f16_e64 v38, v180, v58
	v_fmac_f16_e32 v57, v35, v58
	v_mul_f16_e64 v58, v179, v125
	v_mul_f16_e64 v66, v179, v56
	;; [unrolled: 1-line block ×3, first 2 shown]
	v_fma_f16 v35, v35, v124, -v38
	v_mul_f16_e64 v38, v178, v70
	v_fmac_f16_e32 v58, v36, v56
	v_add_f16_e32 v56, v122, v65
	v_lshrrev_b32_e32 v76, 16, v53
	v_fma_f16 v36, v36, v125, -v66
	v_fmac_f16_e32 v37, v33, v70
	v_fma_f16 v38, v33, v69, -v38
	v_mul_f16_e64 v33, v177, v115
	v_mul_f16_e64 v66, v177, v113
	v_add_f16_e32 v69, v53, v122
	v_fma_f16 v53, -0.5, v56, v53
	v_sub_f16_e32 v56, v45, v46
	v_fmac_f16_e32 v33, v34, v113
	v_fma_f16 v34, v34, v115, -v66
	v_add_f16_e32 v66, v69, v65
	v_add_f16_e32 v69, v45, v46
	v_fmamk_f16 v70, v56, 0xbaee, v53
	v_add_f16_e32 v45, v76, v45
	v_fmac_f16_e32 v53, 0x3aee, v56
	v_add_f16_e64 v56, v128, v63
	v_lshrrev_b32_e32 v83, 16, v54
	v_fmac_f16_e32 v76, -0.5, v69
	v_sub_f16_e32 v65, v122, v65
	v_add_f16_e32 v45, v45, v46
	v_add_f16_e64 v46, v54, v128
	v_fmac_f16_e32 v54, -0.5, v56
	v_sub_f16_e32 v56, v43, v44
	v_fmamk_f16 v69, v65, 0x3aee, v76
	v_fmac_f16_e32 v76, 0xbaee, v65
	v_add_f16_e32 v65, v43, v44
	v_add_f16_e32 v43, v83, v43
	v_fmamk_f16 v85, v56, 0xbaee, v54
	v_fmac_f16_e32 v54, 0x3aee, v56
	v_add_f16_e32 v56, v78, v64
	v_lshrrev_b32_e32 v89, 16, v31
	v_add_f16_e32 v46, v46, v63
	v_fmac_f16_e32 v83, -0.5, v65
	v_sub_f16_e64 v63, v128, v63
	v_add_f16_e32 v43, v43, v44
	v_add_f16_e32 v44, v31, v78
	v_fma_f16 v56, -0.5, v56, v31
	v_sub_f16_e32 v31, v41, v42
	v_fmamk_f16 v65, v63, 0x3aee, v83
	v_fmac_f16_e32 v83, 0xbaee, v63
	v_add_f16_e32 v63, v41, v42
	v_add_f16_e32 v41, v89, v41
	v_fmamk_f16 v87, v31, 0xbaee, v56
	v_fmac_f16_e32 v56, 0x3aee, v31
	v_add_f16_e32 v31, v59, v80
	v_lshrrev_b32_e32 v116, 16, v32
	v_fmac_f16_e32 v89, -0.5, v63
	v_sub_f16_e32 v63, v78, v64
	v_add_f16_e32 v41, v41, v42
	v_add_f16_e32 v42, v32, v59
	v_fmac_f16_e32 v32, -0.5, v31
	v_sub_f16_e32 v31, v39, v40
	v_add_f16_e32 v44, v44, v64
	v_fmamk_f16 v64, v63, 0x3aee, v89
	v_fmac_f16_e32 v89, 0xbaee, v63
	v_add_f16_e32 v63, v39, v40
	v_fmamk_f16 v78, v31, 0xbaee, v32
	v_add_f16_e32 v39, v116, v39
	v_fmac_f16_e32 v32, 0x3aee, v31
	v_add_f16_e32 v31, v60, v62
	v_lshrrev_b32_e32 v119, 16, v29
	v_add_f16_e32 v42, v42, v80
	v_fmac_f16_e32 v116, -0.5, v63
	v_sub_f16_e32 v59, v59, v80
	v_add_f16_e32 v63, v39, v40
	v_add_f16_e32 v39, v29, v60
	v_fma_f16 v80, -0.5, v31, v29
	v_add_f16_e32 v31, v61, v55
	v_sub_f16_e32 v29, v61, v55
	v_fmamk_f16 v91, v59, 0x3aee, v116
	v_fmac_f16_e32 v116, 0xbaee, v59
	v_add_f16_e32 v59, v39, v62
	v_add_f16_e32 v39, v119, v61
	v_fmac_f16_e32 v119, -0.5, v31
	v_sub_f16_e32 v31, v60, v62
	v_fmamk_f16 v113, v29, 0xbaee, v80
	v_fmac_f16_e32 v80, 0x3aee, v29
	v_add_f16_e32 v29, v57, v58
	v_lshrrev_b32_e32 v123, 16, v30
	v_fmamk_f16 v60, v31, 0x3aee, v119
	v_fmac_f16_e32 v119, 0xbaee, v31
	v_add_f16_e32 v31, v35, v36
	v_add_f16_e32 v40, v30, v57
	v_fmac_f16_e32 v30, -0.5, v29
	v_sub_f16_e32 v29, v35, v36
	v_add_f16_e32 v35, v123, v35
	v_fmac_f16_e32 v123, -0.5, v31
	v_sub_f16_e32 v57, v57, v58
	v_add_f16_e32 v61, v40, v58
	v_fmamk_f16 v62, v29, 0xbaee, v30
	v_fmac_f16_e32 v30, 0x3aee, v29
	v_add_f16_e32 v29, v33, v37
	v_add_f16_e32 v40, v34, v38
	v_fmamk_f16 v114, v57, 0x3aee, v123
	v_fmac_f16_e32 v123, 0xbaee, v57
	v_pack_b32_f16 v45, v66, v45
	v_pack_b32_f16 v57, v70, v69
	;; [unrolled: 1-line block ×3, first 2 shown]
	v_add_f16_e32 v55, v39, v55
	v_fma_f16 v29, -0.5, v29, v67
	v_sub_f16_e32 v39, v38, v34
	v_fma_f16 v31, -0.5, v40, v68
	v_sub_f16_e32 v40, v37, v33
	global_wb scope:SCOPE_SE
	s_barrier_signal -1
	s_barrier_wait -1
	global_inv scope:SCOPE_SE
	ds_store_2addr_b32 v167, v45, v57 offset1:12
	ds_store_b32 v167, v53 offset:96
	v_pack_b32_f16 v43, v46, v43
	v_pack_b32_f16 v45, v85, v65
	;; [unrolled: 1-line block ×3, first 2 shown]
	v_add_f16_e32 v58, v35, v36
	v_pack_b32_f16 v41, v44, v41
	v_pack_b32_f16 v44, v87, v64
	;; [unrolled: 1-line block ×3, first 2 shown]
	v_fmamk_f16 v35, v39, 0x3aee, v29
	v_fmamk_f16 v36, v40, 0xbaee, v31
	v_pack_b32_f16 v42, v42, v63
	v_pack_b32_f16 v54, v78, v91
	;; [unrolled: 1-line block ×3, first 2 shown]
	ds_store_2addr_b32 v166, v43, v45 offset1:12
	ds_store_b32 v166, v46 offset:96
	ds_store_2addr_b32 v165, v41, v44 offset1:12
	ds_store_b32 v165, v53 offset:96
	ds_store_2addr_b32 v162, v42, v54 offset1:12
	v_pack_b32_f16 v41, v59, v55
	v_pack_b32_f16 v42, v113, v60
	;; [unrolled: 1-line block ×6, first 2 shown]
	ds_store_b32 v162, v32 offset:96
	ds_store_2addr_b32 v161, v41, v42 offset1:12
	ds_store_b32 v161, v43 offset:96
	ds_store_2addr_b32 v160, v44, v45 offset1:12
	ds_store_b32 v160, v30 offset:96
	s_and_saveexec_b32 s1, vcc_lo
	s_cbranch_execz .LBB0_21
; %bb.20:
	v_mul_f16_e32 v30, 0x3aee, v40
	v_add_f16_e32 v32, v38, v68
	v_add_f16_e32 v37, v67, v37
	v_mul_f16_e32 v38, 0x3aee, v39
	s_delay_alu instid0(VALU_DEP_4) | instskip(NEXT) | instid1(VALU_DEP_4)
	v_add_f16_e32 v30, v30, v31
	v_add_f16_e32 v31, v34, v32
	v_and_b32_e32 v32, 0xffff, v159
	v_add_f16_e32 v33, v33, v37
	v_sub_f16_e32 v29, v29, v38
	s_delay_alu instid0(VALU_DEP_3) | instskip(NEXT) | instid1(VALU_DEP_3)
	v_lshlrev_b32_e32 v32, 2, v32
	v_pack_b32_f16 v31, v33, v31
	s_delay_alu instid0(VALU_DEP_3)
	v_pack_b32_f16 v29, v29, v30
	v_perm_b32 v30, v36, v35, 0x5040100
	ds_store_2addr_b32 v32, v31, v29 offset1:12
	ds_store_b32 v32, v30 offset:96
.LBB0_21:
	s_wait_alu 0xfffe
	s_or_b32 exec_lo, exec_lo, s1
	v_add_nc_u32_e32 v29, 0x200, v72
	v_add_nc_u32_e32 v30, 0x600, v72
	;; [unrolled: 1-line block ×4, first 2 shown]
	global_wb scope:SCOPE_SE
	s_wait_dscnt 0x0
	s_barrier_signal -1
	s_barrier_wait -1
	global_inv scope:SCOPE_SE
	ds_load_2addr_b32 v[31:32], v72 offset1:63
	ds_load_2addr_b32 v[44:45], v29 offset0:124 offset1:187
	ds_load_2addr_b32 v[53:54], v30 offset0:120 offset1:183
	;; [unrolled: 1-line block ×4, first 2 shown]
	v_add_nc_u32_e32 v39, 0x400, v72
	v_add_nc_u32_e32 v40, 0x800, v72
	;; [unrolled: 1-line block ×4, first 2 shown]
	ds_load_2addr_b32 v[29:30], v72 offset0:126 offset1:189
	ds_load_2addr_b32 v[59:60], v39 offset0:122 offset1:185
	;; [unrolled: 1-line block ×5, first 2 shown]
	global_wb scope:SCOPE_SE
	s_wait_dscnt 0x0
	s_barrier_signal -1
	s_barrier_wait -1
	global_inv scope:SCOPE_SE
	v_lshrrev_b32_e32 v43, 16, v31
	v_lshrrev_b32_e32 v46, 16, v44
	;; [unrolled: 1-line block ×4, first 2 shown]
	v_mul_f16_e64 v115, v201, v44
	v_lshrrev_b32_e32 v69, 16, v57
	v_mul_f16_e64 v114, v201, v46
	v_mul_f16_e64 v116, v200, v67
	v_lshrrev_b32_e32 v70, 16, v45
	v_lshrrev_b32_e32 v76, 16, v54
	;; [unrolled: 1-line block ×3, first 2 shown]
	v_fmac_f16_e32 v114, v0, v44
	v_fma_f16 v0, v0, v46, -v115
	v_fmac_f16_e32 v116, v1, v53
	v_mul_f16_e64 v44, v200, v53
	v_mul_f16_e64 v46, v199, v68
	v_mul_f16_e64 v53, v199, v55
	v_lshrrev_b32_e32 v80, 16, v58
	v_mul_f16_e64 v115, v198, v69
	v_fma_f16 v1, v1, v67, -v44
	v_fmac_f16_e32 v46, v2, v55
	v_fma_f16 v2, v2, v68, -v53
	v_mul_f16_e64 v44, v216, v70
	v_mul_f16_e64 v53, v216, v45
	;; [unrolled: 1-line block ×3, first 2 shown]
	v_lshrrev_b32_e32 v83, 16, v59
	v_lshrrev_b32_e32 v85, 16, v61
	v_mul_f16_e64 v119, v198, v57
	v_fmac_f16_e32 v115, v3, v57
	v_mul_f16_e64 v57, v217, v54
	v_mul_f16_e64 v67, v214, v78
	v_fmac_f16_e32 v44, v4, v45
	v_fma_f16 v4, v4, v70, -v53
	v_fmac_f16_e32 v55, v5, v54
	v_mul_f16_e64 v45, v214, v56
	v_mul_f16_e64 v53, v215, v80
	;; [unrolled: 1-line block ×3, first 2 shown]
	v_lshrrev_b32_e32 v87, 16, v63
	v_lshrrev_b32_e32 v89, 16, v65
	v_fma_f16 v5, v5, v76, -v57
	v_fmac_f16_e32 v67, v6, v56
	v_mul_f16_e64 v56, v221, v83
	v_mul_f16_e64 v57, v221, v59
	v_fma_f16 v6, v6, v78, -v45
	v_fmac_f16_e32 v53, v7, v58
	v_fma_f16 v7, v7, v80, -v54
	v_mul_f16_e64 v45, v219, v85
	v_mul_f16_e64 v54, v219, v61
	v_lshrrev_b32_e32 v91, 16, v60
	v_lshrrev_b32_e32 v113, 16, v62
	v_fmac_f16_e32 v56, v16, v59
	v_fma_f16 v16, v16, v83, -v57
	v_mul_f16_e64 v57, v220, v87
	v_mul_f16_e64 v58, v220, v63
	;; [unrolled: 1-line block ×3, first 2 shown]
	v_fmac_f16_e32 v45, v17, v61
	v_fma_f16 v17, v17, v85, -v54
	v_mul_f16_e64 v54, v218, v65
	v_lshrrev_b32_e32 v117, 16, v64
	v_fma_f16 v3, v3, v69, -v119
	v_fmac_f16_e32 v57, v18, v63
	v_fma_f16 v18, v18, v87, -v58
	v_fmac_f16_e32 v59, v19, v65
	v_mul_f16_e64 v58, v224, v91
	v_mul_f16_e64 v61, v224, v60
	;; [unrolled: 1-line block ×4, first 2 shown]
	v_fma_f16 v19, v19, v89, -v54
	v_add_f16_e32 v54, v116, v46
	v_lshrrev_b32_e32 v118, 16, v66
	v_fmac_f16_e32 v58, v12, v60
	v_fma_f16 v12, v12, v91, -v61
	v_fmac_f16_e32 v63, v13, v62
	v_fma_f16 v13, v13, v113, -v65
	v_mul_f16_e64 v60, v223, v117
	v_mul_f16_e64 v61, v223, v64
	v_add_f16_e32 v65, v31, v114
	v_fma_f16 v54, -0.5, v54, v31
	v_sub_f16_e32 v68, v0, v3
	v_mul_f16_e64 v62, v222, v118
	v_fmac_f16_e32 v60, v14, v64
	v_fma_f16 v14, v14, v117, -v61
	v_add_f16_e32 v61, v65, v116
	v_fmamk_f16 v64, v68, 0xbb9c, v54
	v_sub_f16_e32 v65, v1, v2
	v_sub_f16_e32 v69, v114, v116
	;; [unrolled: 1-line block ×3, first 2 shown]
	v_add_f16_e32 v76, v114, v115
	v_fmac_f16_e32 v54, 0x3b9c, v68
	v_fmac_f16_e32 v62, v15, v66
	v_mul_f16_e64 v66, v222, v66
	v_fmac_f16_e32 v64, 0xb8b4, v65
	v_add_f16_e32 v69, v69, v70
	v_fma_f16 v31, -0.5, v76, v31
	v_sub_f16_e32 v70, v116, v114
	v_sub_f16_e32 v76, v46, v115
	v_fmac_f16_e32 v54, 0x38b4, v65
	v_add_f16_e32 v78, v43, v0
	v_add_f16_e32 v80, v1, v2
	v_fma_f16 v15, v15, v118, -v66
	v_fmac_f16_e32 v64, 0x34f2, v69
	v_fmamk_f16 v66, v65, 0x3b9c, v31
	v_add_f16_e32 v70, v70, v76
	v_fmac_f16_e32 v31, 0xbb9c, v65
	v_add_f16_e32 v65, v78, v1
	v_fma_f16 v76, -0.5, v80, v43
	v_fmac_f16_e32 v54, 0x34f2, v69
	v_add_f16_e32 v69, v0, v3
	v_sub_f16_e32 v80, v0, v1
	v_sub_f16_e32 v0, v1, v0
	;; [unrolled: 1-line block ×3, first 2 shown]
	v_add_f16_e32 v61, v61, v46
	v_fmac_f16_e32 v66, 0xb8b4, v68
	v_sub_f16_e32 v78, v114, v115
	v_fmac_f16_e32 v31, 0x38b4, v68
	v_sub_f16_e32 v46, v116, v46
	v_fmac_f16_e32 v43, -0.5, v69
	v_add_f16_e32 v0, v0, v1
	v_add_f16_e32 v1, v32, v44
	v_fmac_f16_e32 v66, 0x34f2, v70
	v_add_f16_e32 v65, v65, v2
	v_fmamk_f16 v68, v78, 0x3b9c, v76
	v_sub_f16_e32 v83, v3, v2
	v_fmac_f16_e32 v31, 0x34f2, v70
	v_fmac_f16_e32 v76, 0xbb9c, v78
	v_fmamk_f16 v70, v46, 0xbb9c, v43
	v_add_f16_e32 v2, v55, v67
	v_fmac_f16_e32 v43, 0x3b9c, v46
	v_add_f16_e32 v1, v1, v55
	v_lshrrev_b32_e32 v34, 16, v32
	v_add_f16_e32 v65, v65, v3
	v_fmac_f16_e32 v68, 0x38b4, v46
	v_add_f16_e32 v69, v80, v83
	v_fmac_f16_e32 v76, 0xb8b4, v46
	v_fmac_f16_e32 v70, 0x38b4, v78
	v_fma_f16 v2, -0.5, v2, v32
	v_sub_f16_e32 v3, v4, v7
	v_sub_f16_e32 v80, v44, v55
	;; [unrolled: 1-line block ×3, first 2 shown]
	v_add_f16_e32 v85, v44, v53
	v_fmac_f16_e32 v43, 0xb8b4, v78
	v_add_f16_e32 v1, v1, v67
	v_fmac_f16_e32 v68, 0x34f2, v69
	v_fmac_f16_e32 v76, 0x34f2, v69
	;; [unrolled: 1-line block ×3, first 2 shown]
	v_fmamk_f16 v69, v3, 0xbb9c, v2
	v_sub_f16_e32 v46, v5, v6
	v_add_f16_e32 v78, v80, v83
	v_fmac_f16_e32 v32, -0.5, v85
	v_fmac_f16_e32 v43, 0x34f2, v0
	v_add_f16_e32 v80, v1, v53
	v_fmac_f16_e32 v2, 0x3b9c, v3
	v_sub_f16_e32 v0, v55, v44
	v_sub_f16_e32 v1, v67, v53
	v_add_f16_e32 v85, v34, v4
	v_add_f16_e32 v87, v5, v6
	v_fmac_f16_e32 v69, 0xb8b4, v46
	v_fmamk_f16 v83, v46, 0x3b9c, v32
	v_fmac_f16_e32 v2, 0x38b4, v46
	v_add_f16_e32 v0, v0, v1
	v_fmac_f16_e32 v32, 0xbb9c, v46
	v_add_f16_e32 v1, v85, v5
	v_fma_f16 v85, -0.5, v87, v34
	v_sub_f16_e32 v44, v44, v53
	v_fmac_f16_e32 v69, 0x34f2, v78
	v_fmac_f16_e32 v83, 0xb8b4, v3
	;; [unrolled: 1-line block ×4, first 2 shown]
	v_add_f16_e32 v1, v1, v6
	v_fmamk_f16 v78, v44, 0x3b9c, v85
	v_add_f16_e32 v3, v4, v7
	v_sub_f16_e32 v46, v55, v67
	v_sub_f16_e32 v53, v4, v5
	;; [unrolled: 1-line block ×3, first 2 shown]
	v_fmac_f16_e32 v85, 0xbb9c, v44
	v_fmac_f16_e32 v83, 0x34f2, v0
	;; [unrolled: 1-line block ×3, first 2 shown]
	v_fmac_f16_e32 v34, -0.5, v3
	v_add_f16_e32 v67, v1, v7
	v_fmac_f16_e32 v78, 0x38b4, v46
	v_add_f16_e32 v1, v53, v55
	v_sub_f16_e32 v0, v5, v4
	v_fmac_f16_e32 v85, 0xb8b4, v46
	v_add_f16_e32 v5, v29, v56
	v_fmamk_f16 v55, v46, 0xbb9c, v34
	v_sub_f16_e32 v3, v6, v7
	v_fmac_f16_e32 v78, 0x34f2, v1
	v_fmac_f16_e32 v85, 0x34f2, v1
	;; [unrolled: 1-line block ×3, first 2 shown]
	v_add_f16_e32 v1, v5, v45
	v_lshrrev_b32_e32 v33, 16, v29
	v_add_f16_e32 v4, v45, v57
	v_fmac_f16_e32 v55, 0x38b4, v44
	v_add_f16_e32 v3, v0, v3
	v_add_f16_e32 v53, v56, v59
	v_fmac_f16_e32 v34, 0xb8b4, v44
	v_add_f16_e32 v1, v1, v57
	v_fma_f16 v0, -0.5, v4, v29
	v_sub_f16_e32 v4, v16, v19
	v_fmac_f16_e32 v55, 0x34f2, v3
	v_sub_f16_e32 v5, v17, v18
	v_fma_f16 v87, -0.5, v53, v29
	v_fmac_f16_e32 v34, 0x34f2, v3
	v_add_f16_e32 v89, v1, v59
	v_sub_f16_e32 v1, v45, v56
	v_sub_f16_e32 v3, v57, v59
	v_add_f16_e32 v29, v33, v16
	v_fmamk_f16 v6, v4, 0xbb9c, v0
	v_sub_f16_e32 v7, v56, v45
	v_sub_f16_e32 v46, v59, v57
	v_fmac_f16_e32 v0, 0x3b9c, v4
	v_fmamk_f16 v91, v5, 0x3b9c, v87
	v_add_f16_e32 v44, v17, v18
	v_add_f16_e32 v1, v1, v3
	v_fmac_f16_e32 v87, 0xbb9c, v5
	v_add_f16_e32 v3, v29, v17
	v_fmac_f16_e32 v6, 0xb8b4, v5
	;; [unrolled: 2-line block ×3, first 2 shown]
	v_fmac_f16_e32 v91, 0xb8b4, v4
	v_fma_f16 v29, -0.5, v44, v33
	v_sub_f16_e32 v5, v56, v59
	v_fmac_f16_e32 v87, 0x38b4, v4
	v_add_f16_e32 v3, v3, v18
	v_add_f16_e32 v4, v16, v19
	v_fmac_f16_e32 v6, 0x34f2, v7
	v_fmac_f16_e32 v0, 0x34f2, v7
	v_fmamk_f16 v7, v5, 0x3b9c, v29
	v_sub_f16_e32 v44, v45, v57
	v_sub_f16_e32 v45, v16, v17
	;; [unrolled: 1-line block ×3, first 2 shown]
	v_fmac_f16_e32 v33, -0.5, v4
	v_add_f16_e32 v56, v3, v19
	v_fmac_f16_e32 v29, 0xbb9c, v5
	v_sub_f16_e32 v3, v17, v16
	v_sub_f16_e32 v4, v18, v19
	v_add_f16_e32 v16, v63, v60
	v_fmac_f16_e32 v91, 0x34f2, v1
	v_fmac_f16_e32 v87, 0x34f2, v1
	;; [unrolled: 1-line block ×3, first 2 shown]
	v_add_f16_e32 v1, v45, v46
	v_fmamk_f16 v57, v44, 0xbb9c, v33
	v_fmac_f16_e32 v29, 0xb8b4, v44
	v_add_f16_e32 v17, v3, v4
	v_fmac_f16_e32 v33, 0x3b9c, v44
	v_add_f16_e32 v4, v30, v58
	v_fma_f16 v3, -0.5, v16, v30
	v_sub_f16_e32 v16, v12, v15
	v_fmac_f16_e32 v7, 0x34f2, v1
	v_fmac_f16_e32 v57, 0x38b4, v5
	;; [unrolled: 1-line block ×4, first 2 shown]
	v_add_f16_e32 v1, v4, v63
	v_fmamk_f16 v4, v16, 0xbb9c, v3
	v_sub_f16_e32 v18, v13, v14
	v_sub_f16_e32 v5, v58, v63
	;; [unrolled: 1-line block ×3, first 2 shown]
	v_fmac_f16_e32 v3, 0x3b9c, v16
	v_add_f16_e32 v44, v58, v62
	v_lshrrev_b32_e32 v37, 16, v30
	v_fmac_f16_e32 v4, 0xb8b4, v18
	v_add_f16_e32 v5, v5, v19
	v_fmac_f16_e32 v3, 0x38b4, v18
	v_fmac_f16_e32 v30, -0.5, v44
	v_fmac_f16_e32 v57, 0x34f2, v17
	v_fmac_f16_e32 v33, 0x34f2, v17
	;; [unrolled: 1-line block ×4, first 2 shown]
	v_fmamk_f16 v5, v18, 0x3b9c, v30
	v_fmac_f16_e32 v30, 0xbb9c, v18
	v_add_f16_e32 v18, v37, v12
	v_add_f16_e32 v17, v13, v14
	v_sub_f16_e32 v19, v63, v58
	v_fmac_f16_e32 v5, 0xb8b4, v16
	v_fmac_f16_e32 v30, 0x38b4, v16
	v_add_f16_e32 v16, v18, v13
	v_add_f16_e32 v18, v12, v15
	v_sub_f16_e32 v45, v60, v62
	v_fma_f16 v44, -0.5, v17, v37
	v_sub_f16_e32 v53, v63, v60
	v_sub_f16_e32 v17, v58, v62
	v_fmac_f16_e32 v37, -0.5, v18
	v_add_f16_e32 v19, v19, v45
	v_sub_f16_e32 v18, v12, v13
	v_sub_f16_e32 v12, v13, v12
	;; [unrolled: 1-line block ×3, first 2 shown]
	v_fmamk_f16 v46, v53, 0xbb9c, v37
	v_fmac_f16_e32 v37, 0x3b9c, v53
	v_fmamk_f16 v45, v17, 0x3b9c, v44
	v_fmac_f16_e32 v5, 0x34f2, v19
	v_fmac_f16_e32 v30, 0x34f2, v19
	v_sub_f16_e32 v19, v15, v14
	v_fmac_f16_e32 v44, 0xbb9c, v17
	v_add_f16_e32 v61, v61, v115
	v_fmac_f16_e32 v46, 0x38b4, v17
	v_add_f16_e32 v12, v12, v13
	;; [unrolled: 2-line block ×4, first 2 shown]
	v_fmac_f16_e32 v44, 0xb8b4, v53
	v_fmac_f16_e32 v46, 0x34f2, v12
	;; [unrolled: 1-line block ×3, first 2 shown]
	v_pack_b32_f16 v12, v61, v65
	v_pack_b32_f16 v13, v64, v68
	v_add_f16_e32 v53, v16, v15
	v_fmac_f16_e32 v45, 0x34f2, v14
	v_fmac_f16_e32 v44, 0x34f2, v14
	v_pack_b32_f16 v14, v66, v70
	v_pack_b32_f16 v15, v31, v43
	v_add_f16_e32 v1, v1, v60
	ds_store_2addr_b32 v193, v12, v13 offset1:36
	ds_store_2addr_b32 v193, v14, v15 offset0:72 offset1:108
	v_pack_b32_f16 v12, v54, v76
	v_pack_b32_f16 v13, v80, v67
	v_pack_b32_f16 v14, v69, v78
	v_add_f16_e32 v1, v1, v62
	v_pack_b32_f16 v15, v83, v55
	v_pack_b32_f16 v16, v32, v34
	;; [unrolled: 1-line block ×5, first 2 shown]
	ds_store_b32 v193, v12 offset:576
	ds_store_2addr_b32 v194, v13, v14 offset1:36
	ds_store_2addr_b32 v194, v15, v16 offset0:72 offset1:108
	ds_store_b32 v194, v2 offset:576
	ds_store_2addr_b32 v195, v17, v6 offset1:36
	v_pack_b32_f16 v2, v91, v57
	v_pack_b32_f16 v6, v87, v33
	;; [unrolled: 1-line block ×8, first 2 shown]
	ds_store_2addr_b32 v195, v2, v6 offset0:72 offset1:108
	ds_store_b32 v195, v7 offset:576
	ds_store_2addr_b32 v196, v12, v13 offset1:36
	ds_store_2addr_b32 v196, v14, v15 offset0:72 offset1:108
	ds_store_b32 v196, v16 offset:576
	global_wb scope:SCOPE_SE
	s_wait_dscnt 0x0
	s_barrier_signal -1
	s_barrier_wait -1
	global_inv scope:SCOPE_SE
	ds_load_2addr_b32 v[6:7], v72 offset1:63
	ds_load_2addr_b32 v[33:34], v72 offset0:180 offset1:243
	ds_load_2addr_b32 v[31:32], v39 offset0:104 offset1:167
	;; [unrolled: 1-line block ×6, first 2 shown]
	s_and_saveexec_b32 s1, s0
	s_cbranch_execz .LBB0_23
; %bb.22:
	v_add_nc_u32_e32 v0, 0x100, v72
	v_add_nc_u32_e32 v2, 0x700, v72
	;; [unrolled: 1-line block ×3, first 2 shown]
	ds_load_b32 v35, v72 offset:4824
	ds_load_2addr_b32 v[0:1], v0 offset0:62 offset1:242
	ds_load_2addr_b32 v[4:5], v2 offset0:38 offset1:218
	;; [unrolled: 1-line block ×3, first 2 shown]
	s_wait_dscnt 0x3
	v_lshrrev_b32_e32 v36, 16, v35
	s_wait_dscnt 0x2
	v_lshrrev_b32_e32 v29, 16, v0
	v_lshrrev_b32_e32 v53, 16, v1
	s_wait_dscnt 0x0
	v_mov_b32_e32 v30, v2
	v_lshrrev_b32_e32 v45, 16, v4
	v_lshrrev_b32_e32 v46, 16, v5
	;; [unrolled: 1-line block ×4, first 2 shown]
.LBB0_23:
	s_wait_alu 0xfffe
	s_or_b32 exec_lo, exec_lo, s1
	s_wait_dscnt 0x5
	v_lshrrev_b32_e32 v38, 16, v33
	s_wait_dscnt 0x4
	v_lshrrev_b32_e32 v39, 16, v31
	;; [unrolled: 2-line block ×4, first 2 shown]
	v_mul_f16_e64 v61, v208, v33
	v_mul_f16_e64 v60, v208, v38
	;; [unrolled: 1-line block ×4, first 2 shown]
	s_wait_dscnt 0x1
	v_lshrrev_b32_e32 v42, 16, v14
	s_wait_dscnt 0x0
	v_lshrrev_b32_e32 v43, 16, v12
	v_lshrrev_b32_e32 v55, 16, v34
	v_fmac_f16_e32 v60, v8, v33
	v_fma_f16 v8, v8, v38, -v61
	v_fmac_f16_e32 v62, v9, v31
	v_fma_f16 v9, v9, v39, -v63
	v_mul_f16_e64 v31, v210, v40
	v_mul_f16_e64 v33, v210, v18
	;; [unrolled: 1-line block ×4, first 2 shown]
	v_lshrrev_b32_e32 v56, 16, v32
	v_lshrrev_b32_e32 v57, 16, v19
	;; [unrolled: 1-line block ×3, first 2 shown]
	v_mul_f16_e64 v61, v212, v42
	v_fmac_f16_e32 v31, v10, v18
	v_fma_f16 v10, v10, v40, -v33
	v_fmac_f16_e32 v38, v11, v16
	v_fma_f16 v11, v11, v41, -v39
	v_mul_f16_e64 v16, v213, v43
	v_mul_f16_e64 v18, v213, v12
	;; [unrolled: 1-line block ×4, first 2 shown]
	v_lshrrev_b32_e32 v59, 16, v15
	v_lshrrev_b32_e32 v64, 16, v13
	v_fmac_f16_e32 v61, v49, v14
	v_mul_f16_e64 v14, v212, v14
	v_fmac_f16_e32 v16, v50, v12
	v_fma_f16 v12, v50, v43, -v18
	v_fmac_f16_e32 v33, v20, v34
	v_fma_f16 v18, v20, v55, -v39
	v_mul_f16_e64 v20, v203, v56
	v_mul_f16_e64 v34, v203, v32
	;; [unrolled: 1-line block ×5, first 2 shown]
	v_fma_f16 v14, v49, v42, -v14
	v_fmac_f16_e32 v20, v21, v32
	v_fma_f16 v21, v21, v56, -v34
	v_fmac_f16_e32 v39, v22, v19
	;; [unrolled: 2-line block ×3, first 2 shown]
	v_mul_f16_e64 v17, v205, v17
	v_mul_f16_e64 v22, v206, v59
	;; [unrolled: 1-line block ×5, first 2 shown]
	v_fma_f16 v17, v23, v58, -v17
	v_fmac_f16_e32 v22, v47, v15
	v_fma_f16 v15, v47, v59, -v32
	v_fmac_f16_e32 v34, v48, v13
	v_fma_f16 v13, v48, v64, -v40
	v_add_f16_e32 v23, v60, v16
	v_add_f16_e32 v32, v8, v12
	v_sub_f16_e32 v8, v8, v12
	v_add_f16_e32 v12, v62, v61
	v_add_f16_e32 v40, v9, v14
	v_sub_f16_e32 v16, v60, v16
	v_sub_f16_e32 v42, v62, v61
	;; [unrolled: 1-line block ×3, first 2 shown]
	v_add_f16_e32 v14, v31, v38
	v_add_f16_e32 v43, v10, v11
	v_sub_f16_e32 v31, v38, v31
	v_sub_f16_e32 v10, v11, v10
	v_add_f16_e32 v11, v12, v23
	v_add_f16_e32 v38, v40, v32
	v_lshrrev_b32_e32 v2, 16, v6
	v_sub_f16_e32 v47, v12, v23
	v_sub_f16_e32 v48, v40, v32
	;; [unrolled: 1-line block ×6, first 2 shown]
	v_add_f16_e32 v49, v31, v42
	v_add_f16_e32 v50, v10, v9
	v_sub_f16_e32 v55, v31, v42
	v_sub_f16_e32 v56, v10, v9
	;; [unrolled: 1-line block ×3, first 2 shown]
	v_add_f16_e32 v11, v14, v11
	v_add_f16_e32 v14, v43, v38
	v_sub_f16_e32 v9, v9, v8
	v_sub_f16_e32 v31, v16, v31
	;; [unrolled: 1-line block ×3, first 2 shown]
	v_add_f16_e32 v16, v49, v16
	v_add_f16_e32 v8, v50, v8
	;; [unrolled: 1-line block ×4, first 2 shown]
	v_mul_f16_e32 v23, 0x3a52, v23
	v_mul_f16_e32 v32, 0x3a52, v32
	;; [unrolled: 1-line block ×8, first 2 shown]
	v_fmamk_f16 v11, v11, 0xbcab, v6
	v_fmamk_f16 v14, v14, 0xbcab, v2
	;; [unrolled: 1-line block ×4, first 2 shown]
	v_fma_f16 v38, v47, 0x39e0, -v38
	v_fma_f16 v43, v48, 0x39e0, -v43
	;; [unrolled: 1-line block ×4, first 2 shown]
	v_fmamk_f16 v47, v31, 0xb574, v49
	v_fmamk_f16 v48, v10, 0xb574, v50
	v_fma_f16 v31, v31, 0x3574, -v55
	v_fma_f16 v10, v10, 0x3574, -v56
	;; [unrolled: 1-line block ×3, first 2 shown]
	v_add_f16_e32 v12, v12, v11
	v_add_f16_e32 v40, v40, v14
	;; [unrolled: 1-line block ×6, first 2 shown]
	v_fmac_f16_e32 v47, 0xb70e, v16
	v_fmac_f16_e32 v10, 0xb70e, v8
	;; [unrolled: 1-line block ×3, first 2 shown]
	v_fma_f16 v9, v9, 0xbb00, -v50
	v_fmac_f16_e32 v42, 0xb70e, v16
	v_sub_f16_e32 v16, v40, v47
	v_add_f16_e32 v23, v10, v11
	v_sub_f16_e32 v32, v14, v31
	v_sub_f16_e32 v10, v11, v10
	v_add_f16_e32 v11, v31, v14
	v_add_f16_e32 v14, v47, v40
	v_add_f16_e32 v31, v33, v34
	v_add_f16_e32 v40, v18, v13
	v_sub_f16_e32 v33, v33, v34
	v_sub_f16_e32 v13, v18, v13
	v_add_f16_e32 v18, v20, v22
	v_add_f16_e32 v34, v21, v15
	v_fmac_f16_e32 v48, 0xb70e, v8
	v_fmac_f16_e32 v9, 0xb70e, v8
	v_sub_f16_e32 v20, v20, v22
	v_sub_f16_e32 v15, v21, v15
	v_add_f16_e32 v21, v39, v41
	v_add_f16_e32 v22, v19, v17
	v_sub_f16_e32 v39, v41, v39
	v_sub_f16_e32 v17, v17, v19
	v_add_f16_e32 v19, v18, v31
	v_add_f16_e32 v41, v34, v40
	v_lshrrev_b32_e32 v54, 16, v7
	v_add_f16_e32 v8, v48, v12
	v_sub_f16_e32 v49, v38, v9
	v_add_f16_e32 v50, v42, v43
	v_add_f16_e32 v9, v9, v38
	v_sub_f16_e32 v38, v43, v42
	v_sub_f16_e32 v12, v12, v48
	v_sub_f16_e32 v42, v18, v31
	v_sub_f16_e32 v43, v34, v40
	v_sub_f16_e32 v31, v31, v21
	v_sub_f16_e32 v40, v40, v22
	v_sub_f16_e32 v18, v21, v18
	v_sub_f16_e32 v34, v22, v34
	v_add_f16_e32 v47, v39, v20
	v_add_f16_e32 v48, v17, v15
	v_sub_f16_e32 v55, v39, v20
	v_sub_f16_e32 v56, v17, v15
	v_add_f16_e32 v19, v21, v19
	v_add_f16_e32 v21, v22, v41
	v_sub_f16_e32 v20, v20, v33
	v_sub_f16_e32 v15, v15, v13
	;; [unrolled: 1-line block ×4, first 2 shown]
	v_add_f16_e32 v22, v47, v33
	v_add_f16_e32 v13, v48, v13
	;; [unrolled: 1-line block ×4, first 2 shown]
	v_mul_f16_e32 v31, 0x3a52, v31
	v_mul_f16_e32 v40, 0x3a52, v40
	;; [unrolled: 1-line block ×8, first 2 shown]
	v_fmamk_f16 v19, v19, 0xbcab, v7
	v_fmamk_f16 v21, v21, 0xbcab, v33
	;; [unrolled: 1-line block ×4, first 2 shown]
	v_fma_f16 v41, v42, 0x39e0, -v41
	v_fma_f16 v47, v43, 0x39e0, -v47
	;; [unrolled: 1-line block ×4, first 2 shown]
	v_fmamk_f16 v42, v39, 0xb574, v48
	v_fmamk_f16 v43, v17, 0xb574, v54
	v_fma_f16 v39, v39, 0x3574, -v55
	v_fma_f16 v17, v17, 0x3574, -v56
	v_fma_f16 v20, v20, 0xbb00, -v48
	v_fma_f16 v15, v15, 0xbb00, -v54
	v_add_f16_e32 v18, v18, v19
	v_add_f16_e32 v34, v34, v21
	v_fmac_f16_e32 v42, 0xb70e, v22
	v_fmac_f16_e32 v43, 0xb70e, v13
	v_add_f16_e32 v41, v41, v19
	v_add_f16_e32 v47, v47, v21
	;; [unrolled: 1-line block ×4, first 2 shown]
	v_fmac_f16_e32 v17, 0xb70e, v13
	v_fmac_f16_e32 v39, 0xb70e, v22
	v_fmac_f16_e32 v20, 0xb70e, v22
	v_fmac_f16_e32 v15, 0xb70e, v13
	v_add_f16_e32 v13, v43, v18
	v_sub_f16_e32 v22, v34, v42
	v_pack_b32_f16 v2, v6, v2
	v_pack_b32_f16 v6, v8, v16
	v_add_f16_e32 v31, v17, v19
	v_sub_f16_e32 v40, v21, v39
	v_pack_b32_f16 v8, v23, v32
	v_sub_f16_e32 v48, v41, v15
	v_add_f16_e32 v54, v20, v47
	v_pack_b32_f16 v16, v49, v50
	v_add_f16_e32 v15, v15, v41
	v_sub_f16_e32 v20, v47, v20
	v_pack_b32_f16 v9, v9, v38
	v_sub_f16_e32 v17, v19, v17
	v_add_f16_e32 v19, v39, v21
	v_pack_b32_f16 v10, v10, v11
	v_sub_f16_e32 v18, v18, v43
	v_add_f16_e32 v21, v42, v34
	v_pack_b32_f16 v11, v12, v14
	v_pack_b32_f16 v7, v7, v33
	ds_store_b32 v72, v6 offset:720
	ds_store_b32 v72, v8 offset:1440
	ds_store_b32 v72, v16 offset:2160
	ds_store_b32 v72, v9 offset:2880
	ds_store_b32 v72, v10 offset:3600
	ds_store_b32 v72, v11 offset:4320
	ds_store_2addr_b32 v72, v2, v7 offset1:63
	v_pack_b32_f16 v2, v13, v22
	v_pack_b32_f16 v6, v31, v40
	;; [unrolled: 1-line block ×6, first 2 shown]
	ds_store_b32 v72, v2 offset:972
	ds_store_b32 v72, v6 offset:1692
	;; [unrolled: 1-line block ×6, first 2 shown]
	s_and_saveexec_b32 s1, s0
	s_cbranch_execz .LBB0_25
; %bb.24:
	v_mul_f16_e64 v2, v230, v53
	v_mul_f16_e64 v8, v176, v45
	;; [unrolled: 1-line block ×5, first 2 shown]
	v_fmac_f16_e32 v2, v24, v1
	v_fmac_f16_e32 v8, v25, v4
	;; [unrolled: 1-line block ×3, first 2 shown]
	v_mul_f16_e64 v1, v230, v1
	v_mul_f16_e64 v3, v228, v3
	;; [unrolled: 1-line block ×4, first 2 shown]
	v_fmac_f16_e32 v7, v26, v5
	v_fma_f16 v13, v52, v36, -v13
	v_fma_f16 v1, v24, v53, -v1
	v_mul_f16_e64 v5, v226, v5
	v_mul_f16_e64 v17, v227, v30
	v_fma_f16 v3, v51, v44, -v3
	v_fma_f16 v4, v25, v45, -v4
	v_mul_f16_e64 v6, v227, v37
	v_fmac_f16_e32 v10, v52, v35
	v_add_f16_e32 v18, v13, v1
	v_fma_f16 v5, v26, v46, -v5
	v_fma_f16 v17, v27, v37, -v17
	v_add_f16_e32 v19, v3, v4
	v_fmac_f16_e32 v6, v27, v30
	v_sub_f16_e32 v12, v8, v9
	v_sub_f16_e32 v14, v2, v10
	v_add_f16_e32 v21, v17, v5
	v_add_f16_e32 v22, v19, v18
	;; [unrolled: 1-line block ×4, first 2 shown]
	v_sub_f16_e32 v11, v6, v7
	v_sub_f16_e32 v23, v18, v21
	v_add_f16_e32 v22, v21, v22
	v_sub_f16_e32 v9, v21, v19
	v_add_f16_e32 v6, v6, v7
	v_add_f16_e32 v21, v8, v2
	v_sub_f16_e32 v5, v17, v5
	v_sub_f16_e32 v3, v4, v3
	;; [unrolled: 1-line block ×4, first 2 shown]
	v_add_f16_e32 v21, v6, v21
	v_sub_f16_e32 v15, v11, v12
	v_sub_f16_e32 v16, v14, v11
	v_add_f16_e32 v11, v11, v12
	v_mul_f16_e32 v4, 0x3a52, v24
	v_sub_f16_e32 v6, v6, v8
	v_add_f16_e32 v0, v0, v21
	v_sub_f16_e32 v13, v5, v3
	v_sub_f16_e32 v12, v12, v14
	v_mul_f16_e32 v10, 0x3a52, v23
	v_sub_f16_e32 v24, v1, v5
	v_add_f16_e32 v5, v5, v3
	v_sub_f16_e32 v18, v19, v18
	v_sub_f16_e32 v3, v3, v1
	v_mul_f16_e32 v15, 0x3846, v15
	v_add_f16_e32 v7, v29, v22
	v_mul_f16_e32 v23, 0x2b26, v9
	v_fmamk_f16 v17, v6, 0x2b26, v4
	v_fmamk_f16 v21, v21, 0xbcab, v0
	v_mul_f16_e32 v13, 0x3846, v13
	v_mul_f16_e32 v26, 0xbb00, v12
	v_fmamk_f16 v9, v9, 0x2b26, v10
	v_mul_f16_e32 v6, 0x2b26, v6
	v_sub_f16_e32 v2, v8, v2
	v_fma_f16 v8, v18, 0xb9e0, -v10
	v_mul_f16_e32 v10, 0xbb00, v3
	v_fmamk_f16 v20, v16, 0xb574, v15
	v_add_f16_e32 v11, v11, v14
	v_fmamk_f16 v22, v22, 0xbcab, v7
	v_add_f16_e32 v14, v17, v21
	;; [unrolled: 2-line block ×3, first 2 shown]
	v_fma_f16 v5, v16, 0x3574, -v26
	v_fma_f16 v16, v18, 0x39e0, -v23
	;; [unrolled: 1-line block ×7, first 2 shown]
	v_fmac_f16_e32 v20, 0xb70e, v11
	v_add_f16_e32 v9, v9, v22
	v_fmac_f16_e32 v17, 0xb70e, v1
	v_add_f16_e32 v6, v16, v22
	v_fmac_f16_e32 v12, 0xb70e, v11
	v_fmac_f16_e32 v5, 0xb70e, v11
	v_add_f16_e32 v8, v8, v22
	v_add_f16_e32 v4, v4, v21
	v_fmac_f16_e32 v10, 0xb70e, v1
	v_fmac_f16_e32 v3, 0xb70e, v1
	v_add_f16_e32 v1, v2, v21
	v_add_f16_e32 v25, v20, v9
	v_sub_f16_e32 v15, v6, v12
	v_add_f16_e32 v6, v12, v6
	v_sub_f16_e32 v9, v9, v20
	v_add_f16_e32 v12, v17, v14
	v_add_f16_e32 v11, v5, v8
	v_sub_f16_e32 v13, v4, v10
	v_add_f16_e32 v16, v3, v1
	v_sub_f16_e32 v5, v8, v5
	;; [unrolled: 2-line block ×3, first 2 shown]
	v_sub_f16_e32 v2, v14, v17
	v_pack_b32_f16 v0, v0, v7
	v_pack_b32_f16 v3, v12, v9
	v_add_nc_u32_e32 v7, 0x100, v72
	v_pack_b32_f16 v4, v4, v5
	v_pack_b32_f16 v1, v1, v6
	v_add_nc_u32_e32 v5, 0x700, v72
	;; [unrolled: 3-line block ×3, first 2 shown]
	v_pack_b32_f16 v2, v2, v25
	ds_store_2addr_b32 v7, v0, v3 offset0:62 offset1:242
	ds_store_2addr_b32 v5, v4, v1 offset0:38 offset1:218
	;; [unrolled: 1-line block ×3, first 2 shown]
	ds_store_b32 v72, v2 offset:4824
.LBB0_25:
	s_wait_alu 0xfffe
	s_or_b32 exec_lo, exec_lo, s1
	global_wb scope:SCOPE_SE
	s_wait_dscnt 0x0
	s_barrier_signal -1
	s_barrier_wait -1
	global_inv scope:SCOPE_SE
	ds_load_2addr_b32 v[0:1], v72 offset1:63
	v_mad_co_u64_u32 v[14:15], null, s4, v100, 0
	v_add_nc_u32_e32 v2, 0x800, v72
	s_mov_b32 s8, 0x1a01a01a
	s_mov_b32 s9, 0x3f4a01a0
	ds_load_2addr_b32 v[2:3], v2 offset0:118 offset1:181
	s_wait_dscnt 0x1
	v_lshrrev_b32_e32 v4, 16, v0
	v_mul_f16_e32 v5, v112, v0
	v_lshrrev_b32_e32 v12, 16, v1
	s_delay_alu instid0(VALU_DEP_3) | instskip(NEXT) | instid1(VALU_DEP_3)
	v_mul_f16_e32 v6, v112, v4
	v_fma_f16 v4, v105, v4, -v5
	s_delay_alu instid0(VALU_DEP_3)
	v_mul_f16_e32 v9, v110, v12
	s_wait_dscnt 0x0
	v_lshrrev_b32_e32 v8, 16, v2
	v_mul_f16_e32 v7, v111, v2
	v_fmac_f16_e32 v6, v105, v0
	v_cvt_f32_f16_e32 v0, v4
	v_fmac_f16_e32 v9, v104, v1
	v_mul_f16_e32 v13, v111, v8
	s_delay_alu instid0(VALU_DEP_4) | instskip(NEXT) | instid1(VALU_DEP_4)
	v_cvt_f32_f16_e32 v6, v6
	v_cvt_f64_f32_e32 v[4:5], v0
	v_fma_f16 v0, v107, v8, -v7
	v_cvt_f32_f16_e32 v10, v9
	v_fmac_f16_e32 v13, v107, v2
	v_cvt_f64_f32_e32 v[6:7], v6
	v_mul_f16_e32 v2, v110, v1
	v_cvt_f32_f16_e32 v0, v0
	v_cvt_f64_f32_e32 v[10:11], v10
	s_delay_alu instid0(VALU_DEP_3) | instskip(NEXT) | instid1(VALU_DEP_3)
	v_fma_f16 v2, v104, v12, -v2
	v_cvt_f64_f32_e32 v[8:9], v0
	v_cvt_f32_f16_e32 v0, v13
	v_mad_co_u64_u32 v[12:13], null, s6, v28, 0
	s_delay_alu instid0(VALU_DEP_4) | instskip(NEXT) | instid1(VALU_DEP_3)
	v_cvt_f32_f16_e32 v2, v2
	v_cvt_f64_f32_e32 v[0:1], v0
	s_delay_alu instid0(VALU_DEP_2) | instskip(NEXT) | instid1(VALU_DEP_4)
	v_cvt_f64_f32_e32 v[16:17], v2
	v_dual_mov_b32 v2, v13 :: v_dual_mov_b32 v13, v15
	s_delay_alu instid0(VALU_DEP_1) | instskip(NEXT) | instid1(VALU_DEP_2)
	v_mad_co_u64_u32 v[18:19], null, s7, v28, v[2:3]
	v_mad_co_u64_u32 v[19:20], null, s5, v100, v[13:14]
	v_lshrrev_b32_e32 v2, 16, v3
	s_delay_alu instid0(VALU_DEP_3) | instskip(NEXT) | instid1(VALU_DEP_2)
	v_mov_b32_e32 v13, v18
	v_mul_f16_e32 v18, v109, v2
	s_wait_alu 0xfffe
	v_mul_f64_e32 v[4:5], s[8:9], v[4:5]
	s_delay_alu instid0(VALU_DEP_3) | instskip(NEXT) | instid1(VALU_DEP_3)
	v_lshlrev_b64_e32 v[12:13], 2, v[12:13]
	v_fmac_f16_e32 v18, v102, v3
	v_mul_f16_e32 v3, v109, v3
	v_mul_f64_e32 v[6:7], s[8:9], v[6:7]
	v_mul_f64_e32 v[10:11], s[8:9], v[10:11]
	v_add_co_u32 v12, vcc_lo, s2, v12
	s_wait_alu 0xfffd
	v_add_co_ci_u32_e32 v13, vcc_lo, s3, v13, vcc_lo
	v_mul_f64_e32 v[8:9], s[8:9], v[8:9]
	v_cvt_f32_f16_e32 v18, v18
	v_mul_f64_e32 v[0:1], s[8:9], v[0:1]
	v_mul_f64_e32 v[16:17], s[8:9], v[16:17]
	v_and_or_b32 v4, 0x1ff, v5, v4
	v_and_or_b32 v6, 0x1ff, v7, v6
	v_bfe_u32 v21, v7, 20, 11
	v_lshrrev_b32_e32 v20, 8, v7
	v_and_or_b32 v10, 0x1ff, v11, v10
	v_lshrrev_b32_e32 v7, 16, v7
	v_lshrrev_b32_e32 v25, 8, v11
	v_sub_nc_u32_e32 v27, 0x3f1, v21
	v_add_nc_u32_e32 v21, 0xfffffc10, v21
	v_bfe_u32 v24, v9, 20, 11
	v_mov_b32_e32 v15, v19
	v_and_or_b32 v8, 0x1ff, v9, v8
	v_bfe_u32 v19, v5, 20, 11
	v_lshrrev_b32_e32 v23, 8, v9
	v_sub_nc_u32_e32 v29, 0x3f1, v24
	v_add_nc_u32_e32 v24, 0xfffffc10, v24
	v_lshlrev_b64_e32 v[14:15], 2, v[14:15]
	v_sub_nc_u32_e32 v22, 0x3f1, v19
	v_add_nc_u32_e32 v19, 0xfffffc10, v19
	v_and_or_b32 v0, 0x1ff, v1, v0
	v_bfe_u32 v28, v1, 20, 11
	v_bfe_u32 v26, v11, 20, 11
	v_add_co_u32 v12, vcc_lo, v12, v14
	s_wait_alu 0xfffd
	v_add_co_ci_u32_e32 v13, vcc_lo, v13, v15, vcc_lo
	v_cmp_ne_u32_e32 vcc_lo, 0, v4
	v_cvt_f64_f32_e32 v[14:15], v18
	v_lshrrev_b32_e32 v18, 8, v5
	v_sub_nc_u32_e32 v31, 0x3f1, v28
	v_lshrrev_b32_e32 v5, 16, v5
	s_wait_alu 0xfffd
	v_cndmask_b32_e64 v4, 0, 1, vcc_lo
	v_cmp_ne_u32_e32 vcc_lo, 0, v6
	v_lshrrev_b32_e32 v11, 16, v11
	s_delay_alu instid0(VALU_DEP_3)
	v_and_or_b32 v4, 0xffe, v18, v4
	s_wait_alu 0xfffd
	v_cndmask_b32_e64 v6, 0, 1, vcc_lo
	v_cmp_ne_u32_e32 vcc_lo, 0, v8
	v_med3_i32 v18, v22, 0, 13
	v_lshrrev_b32_e32 v22, 8, v1
	v_lshl_or_b32 v30, v19, 12, v4
	v_and_or_b32 v6, 0xffe, v20, v6
	s_wait_alu 0xfffd
	v_cndmask_b32_e64 v8, 0, 1, vcc_lo
	v_cmp_ne_u32_e32 vcc_lo, 0, v10
	v_med3_i32 v20, v27, 0, 13
	v_or_b32_e32 v27, 0x1000, v4
	v_lshl_or_b32 v32, v21, 12, v6
	v_and_or_b32 v8, 0xffe, v23, v8
	s_wait_alu 0xfffd
	v_cndmask_b32_e64 v10, 0, 1, vcc_lo
	v_cmp_ne_u32_e32 vcc_lo, 0, v4
	v_med3_i32 v23, v29, 0, 13
	v_or_b32_e32 v29, 0x1000, v6
	v_lshrrev_b32_e32 v33, v18, v27
	v_lshl_or_b32 v34, v24, 12, v8
	s_wait_alu 0xfffd
	v_cndmask_b32_e64 v4, 0, 1, vcc_lo
	v_cmp_ne_u32_e32 vcc_lo, 0, v0
	v_add_nc_u32_e32 v28, 0xfffffc10, v28
	v_lshrrev_b32_e32 v35, v20, v29
	v_lshlrev_b32_e32 v18, v18, v33
	v_lshl_or_b32 v4, v4, 9, 0x7c00
	s_wait_alu 0xfffd
	v_cndmask_b32_e64 v0, 0, 1, vcc_lo
	v_cmp_ne_u32_e32 vcc_lo, 0, v6
	v_lshlrev_b32_e32 v20, v20, v35
	v_and_or_b32 v10, 0xffe, v25, v10
	v_lshrrev_b32_e32 v1, 16, v1
	v_and_or_b32 v0, 0xffe, v22, v0
	s_wait_alu 0xfffd
	v_cndmask_b32_e64 v6, 0, 1, vcc_lo
	v_med3_i32 v22, v31, 0, 13
	v_or_b32_e32 v31, 0x1000, v8
	v_cmp_ne_u32_e32 vcc_lo, 0, v0
	v_or_b32_e32 v36, 0x1000, v0
	v_lshl_or_b32 v37, v28, 12, v0
	s_delay_alu instid0(VALU_DEP_4)
	v_lshrrev_b32_e32 v38, v23, v31
	v_lshl_or_b32 v6, v6, 9, 0x7c00
	s_wait_alu 0xfffd
	v_cndmask_b32_e64 v0, 0, 1, vcc_lo
	v_cmp_ne_u32_e32 vcc_lo, v18, v27
	v_lshrrev_b32_e32 v27, v22, v36
	v_lshlrev_b32_e32 v23, v23, v38
	s_delay_alu instid0(VALU_DEP_4) | instskip(SKIP_4) | instid1(VALU_DEP_3)
	v_lshl_or_b32 v0, v0, 9, 0x7c00
	s_wait_alu 0xfffd
	v_cndmask_b32_e64 v18, 0, 1, vcc_lo
	v_cmp_ne_u32_e32 vcc_lo, v20, v29
	v_lshlrev_b32_e32 v22, v22, v27
	v_or_b32_e32 v18, v33, v18
	s_wait_alu 0xfffd
	v_cndmask_b32_e64 v20, 0, 1, vcc_lo
	v_cmp_ne_u32_e32 vcc_lo, v23, v31
	s_delay_alu instid0(VALU_DEP_2) | instskip(SKIP_3) | instid1(VALU_DEP_2)
	v_or_b32_e32 v20, v35, v20
	s_wait_alu 0xfffd
	v_cndmask_b32_e64 v23, 0, 1, vcc_lo
	v_cmp_gt_i32_e32 vcc_lo, 1, v19
	v_or_b32_e32 v23, v38, v23
	s_wait_alu 0xfffd
	v_cndmask_b32_e32 v18, v30, v18, vcc_lo
	v_cmp_ne_u32_e32 vcc_lo, v22, v36
	s_delay_alu instid0(VALU_DEP_2)
	v_and_b32_e32 v29, 7, v18
	s_wait_alu 0xfffd
	v_cndmask_b32_e64 v22, 0, 1, vcc_lo
	v_cmp_gt_i32_e32 vcc_lo, 1, v21
	v_lshrrev_b32_e32 v18, 2, v18
	v_cmp_eq_u32_e64 s2, 3, v29
	s_delay_alu instid0(VALU_DEP_4)
	v_or_b32_e32 v22, v27, v22
	s_wait_alu 0xfffd
	v_cndmask_b32_e32 v20, v32, v20, vcc_lo
	v_cmp_gt_i32_e32 vcc_lo, 1, v24
	s_wait_alu 0xfffd
	v_cndmask_b32_e32 v23, v34, v23, vcc_lo
	v_cmp_lt_i32_e32 vcc_lo, 5, v29
	v_cmp_gt_i32_e64 s3, 1, v28
	s_or_b32 vcc_lo, s2, vcc_lo
	s_delay_alu instid0(VALU_DEP_1)
	v_cndmask_b32_e64 v22, v37, v22, s3
	s_wait_alu 0xfffe
	v_add_co_ci_u32_e32 v18, vcc_lo, 0, v18, vcc_lo
	v_and_b32_e32 v27, 7, v20
	v_lshrrev_b32_e32 v20, 2, v20
	v_cmp_gt_i32_e32 vcc_lo, 31, v21
	v_and_b32_e32 v29, 7, v22
	s_mul_u64 s[2:3], s[4:5], 0x9d8
	v_cmp_lt_i32_e64 s0, 5, v27
	v_cmp_eq_u32_e64 s1, 3, v27
	v_and_b32_e32 v27, 7, v23
	s_delay_alu instid0(VALU_DEP_2)
	s_or_b32 s0, s1, s0
	v_cmp_eq_u32_e64 s1, 0x40f, v19
	s_wait_alu 0xfffe
	v_add_co_ci_u32_e64 v20, s0, 0, v20, s0
	v_cmp_eq_u32_e64 s0, 0x40f, v21
	s_wait_alu 0xfffd
	s_delay_alu instid0(VALU_DEP_2) | instskip(SKIP_2) | instid1(VALU_DEP_2)
	v_cndmask_b32_e32 v20, 0x7c00, v20, vcc_lo
	v_cmp_gt_i32_e32 vcc_lo, 31, v19
	s_wait_alu 0xf1ff
	v_cndmask_b32_e64 v6, v20, v6, s0
	s_wait_alu 0xfffd
	v_cndmask_b32_e32 v18, 0x7c00, v18, vcc_lo
	v_cmp_lt_i32_e32 vcc_lo, 5, v29
	v_cmp_eq_u32_e64 s0, 3, v29
	v_lshrrev_b32_e32 v20, 2, v22
	v_and_or_b32 v6, 0x8000, v7, v6
	v_cndmask_b32_e64 v4, v18, v4, s1
	v_cmp_gt_i32_e64 s1, 31, v28
	s_or_b32 vcc_lo, s0, vcc_lo
	v_cmp_eq_u32_e64 s0, 3, v27
	s_wait_alu 0xfffe
	v_add_co_ci_u32_e32 v7, vcc_lo, 0, v20, vcc_lo
	v_and_or_b32 v4, 0x8000, v5, v4
	v_and_b32_e32 v5, 0xffff, v6
	v_cmp_lt_i32_e32 vcc_lo, 5, v27
	s_delay_alu instid0(VALU_DEP_4)
	v_cndmask_b32_e64 v6, 0x7c00, v7, s1
	v_sub_nc_u32_e32 v7, 0x3f1, v26
	v_or_b32_e32 v18, 0x1000, v10
	v_lshl_or_b32 v4, v4, 16, v5
	v_lshrrev_b32_e32 v5, 2, v23
	s_or_b32 vcc_lo, s0, vcc_lo
	v_med3_i32 v7, v7, 0, 13
	global_store_b32 v[12:13], v4, off
	s_wait_alu 0xfffe
	v_add_co_ci_u32_e32 v5, vcc_lo, 0, v5, vcc_lo
	v_cmp_ne_u32_e32 vcc_lo, 0, v8
	v_and_or_b32 v4, 0x1ff, v17, v16
	v_add_nc_u32_e32 v16, 0xfffffc10, v26
	s_wait_alu 0xfffd
	v_cndmask_b32_e64 v8, 0, 1, vcc_lo
	v_cmp_gt_i32_e32 vcc_lo, 31, v24
	s_delay_alu instid0(VALU_DEP_2)
	v_lshl_or_b32 v8, v8, 9, 0x7c00
	s_wait_alu 0xfffd
	v_cndmask_b32_e32 v5, 0x7c00, v5, vcc_lo
	v_cmp_eq_u32_e32 vcc_lo, 0x40f, v28
	s_wait_alu 0xfffd
	v_cndmask_b32_e32 v0, v6, v0, vcc_lo
	v_lshrrev_b32_e32 v6, v7, v18
	v_cmp_eq_u32_e32 vcc_lo, 0x40f, v24
	s_delay_alu instid0(VALU_DEP_2)
	v_lshlrev_b32_e32 v7, v7, v6
	s_wait_alu 0xfffd
	v_cndmask_b32_e32 v5, v5, v8, vcc_lo
	v_lshrrev_b32_e32 v8, 16, v9
	v_and_or_b32 v9, 0x8000, v1, v0
	v_cmp_ne_u32_e32 vcc_lo, v7, v18
	v_lshl_or_b32 v7, v16, 12, v10
	s_delay_alu instid0(VALU_DEP_4)
	v_and_or_b32 v5, 0x8000, v8, v5
	v_bfe_u32 v8, v17, 20, 11
	s_wait_alu 0xfffd
	v_cndmask_b32_e64 v0, 0, 1, vcc_lo
	v_cmp_ne_u32_e32 vcc_lo, 0, v4
	v_lshrrev_b32_e32 v4, 8, v17
	s_delay_alu instid0(VALU_DEP_3) | instskip(SKIP_3) | instid1(VALU_DEP_2)
	v_or_b32_e32 v6, v6, v0
	s_wait_alu 0xfffd
	v_cndmask_b32_e64 v1, 0, 1, vcc_lo
	v_cmp_gt_i32_e32 vcc_lo, 1, v16
	v_and_or_b32 v18, 0xffe, v4, v1
	v_sub_nc_u32_e32 v4, 0x3f1, v8
	v_mul_f64_e32 v[0:1], s[8:9], v[14:15]
	v_fma_f16 v14, v102, v2, -v3
	ds_load_2addr_b32 v[2:3], v72 offset0:126 offset1:189
	v_or_b32_e32 v15, 0x1000, v18
	v_med3_i32 v19, v4, 0, 13
	v_and_b32_e32 v4, 0xffff, v9
	v_cvt_f32_f16_e32 v9, v14
	s_wait_alu 0xfffd
	v_cndmask_b32_e32 v14, v7, v6, vcc_lo
	v_add_co_u32 v6, vcc_lo, v12, s2
	v_lshrrev_b32_e32 v20, v19, v15
	v_lshl_or_b32 v21, v5, 16, v4
	v_cvt_f64_f32_e32 v[4:5], v9
	v_and_b32_e32 v9, 7, v14
	s_wait_alu 0xfffd
	v_add_co_ci_u32_e32 v7, vcc_lo, s3, v13, vcc_lo
	v_lshlrev_b32_e32 v19, v19, v20
	s_delay_alu instid0(VALU_DEP_3) | instskip(SKIP_2) | instid1(VALU_DEP_4)
	v_cmp_lt_i32_e32 vcc_lo, 5, v9
	v_cmp_eq_u32_e64 s0, 3, v9
	v_lshrrev_b32_e32 v9, 2, v14
	v_cmp_ne_u32_e64 s1, v19, v15
	v_add_nc_u32_e32 v14, 0xfffffc10, v8
	s_wait_dscnt 0x0
	v_lshrrev_b32_e32 v13, 16, v2
	s_or_b32 vcc_lo, s0, vcc_lo
	s_wait_alu 0xfffe
	v_add_co_ci_u32_e32 v8, vcc_lo, 0, v9, vcc_lo
	v_cndmask_b32_e64 v12, 0, 1, s1
	v_cmp_ne_u32_e32 vcc_lo, 0, v10
	v_mul_f16_e32 v9, v108, v13
	v_lshl_or_b32 v15, v14, 12, v18
	v_cmp_eq_u32_e64 s1, 0x40f, v16
	v_or_b32_e32 v12, v20, v12
	s_wait_alu 0xfffd
	v_cndmask_b32_e64 v10, 0, 1, vcc_lo
	v_cmp_gt_i32_e32 vcc_lo, 1, v14
	v_fmac_f16_e32 v9, v98, v2
	v_mul_f16_e32 v2, v108, v2
	v_and_or_b32 v0, 0x1ff, v1, v0
	v_lshrrev_b32_e32 v20, 8, v1
	s_wait_alu 0xfffd
	v_cndmask_b32_e32 v12, v15, v12, vcc_lo
	v_cmp_gt_i32_e32 vcc_lo, 31, v16
	v_bfe_u32 v22, v1, 20, 11
	v_lshl_or_b32 v10, v10, 9, 0x7c00
	v_fma_f16 v2, v98, v13, -v2
	v_and_b32_e32 v19, 7, v12
	s_wait_alu 0xfffd
	v_cndmask_b32_e32 v15, 0x7c00, v8, vcc_lo
	v_cvt_f32_f16_e32 v8, v9
	v_cmp_ne_u32_e32 vcc_lo, 0, v0
	v_lshrrev_b32_e32 v12, 2, v12
	v_mul_f64_e32 v[4:5], s[8:9], v[4:5]
	v_cmp_eq_u32_e64 s0, 3, v19
	v_cvt_f64_f32_e32 v[8:9], v8
	s_wait_alu 0xfffd
	v_cndmask_b32_e64 v0, 0, 1, vcc_lo
	v_cmp_lt_i32_e32 vcc_lo, 5, v19
	v_sub_nc_u32_e32 v19, 0x3f1, v22
	s_wait_alu 0xf1ff
	v_cndmask_b32_e64 v10, v15, v10, s1
	v_lshrrev_b32_e32 v13, 16, v17
	v_and_or_b32 v0, 0xffe, v20, v0
	s_or_b32 vcc_lo, s0, vcc_lo
	v_med3_i32 v16, v19, 0, 13
	s_wait_alu 0xfffe
	v_add_co_ci_u32_e32 v12, vcc_lo, 0, v12, vcc_lo
	v_or_b32_e32 v15, 0x1000, v0
	v_cmp_ne_u32_e32 vcc_lo, 0, v18
	v_and_or_b32 v20, 0x8000, v11, v10
	v_add_nc_u32_e32 v11, 0xa00, v72
	v_cvt_f32_f16_e32 v2, v2
	v_lshrrev_b32_e32 v19, v16, v15
	s_wait_alu 0xfffd
	v_cndmask_b32_e64 v18, 0, 1, vcc_lo
	v_cmp_gt_i32_e32 vcc_lo, 31, v14
	s_movk_i32 s0, 0xf724
	s_mov_b32 s1, -1
	v_lshlrev_b32_e32 v16, v16, v19
	v_lshl_or_b32 v18, v18, 9, 0x7c00
	s_wait_alu 0xfffd
	v_cndmask_b32_e32 v12, 0x7c00, v12, vcc_lo
	v_cmp_eq_u32_e32 vcc_lo, 0x40f, v14
	s_wait_alu 0xfffe
	s_mul_u64 s[4:5], s[4:5], s[0:1]
	v_lshrrev_b32_e32 v1, 16, v1
	s_wait_alu 0xfffd
	v_cndmask_b32_e32 v12, v12, v18, vcc_lo
	v_cmp_ne_u32_e32 vcc_lo, v16, v15
	v_add_nc_u32_e32 v18, 0xfffffc10, v22
	s_delay_alu instid0(VALU_DEP_3) | instskip(SKIP_2) | instid1(VALU_DEP_3)
	v_and_or_b32 v16, 0x8000, v13, v12
	s_wait_alu 0xfffd
	v_cndmask_b32_e64 v10, 0, 1, vcc_lo
	v_lshl_or_b32 v15, v18, 12, v0
	v_cmp_gt_i32_e32 vcc_lo, 1, v18
	v_mul_f64_e32 v[8:9], s[8:9], v[8:9]
	v_and_or_b32 v4, 0x1ff, v5, v4
	v_or_b32_e32 v14, v19, v10
	ds_load_2addr_b32 v[10:11], v11 offset0:116 offset1:179
	v_cvt_f64_f32_e32 v[12:13], v2
	v_lshrrev_b32_e32 v17, 8, v5
	v_bfe_u32 v19, v5, 20, 11
	s_wait_alu 0xfffd
	v_cndmask_b32_e32 v2, v15, v14, vcc_lo
	v_cmp_ne_u32_e32 vcc_lo, 0, v4
	v_and_b32_e32 v14, 0xffff, v20
	v_lshrrev_b32_e32 v5, 16, v5
	s_delay_alu instid0(VALU_DEP_4)
	v_and_b32_e32 v15, 7, v2
	s_wait_alu 0xfffd
	v_cndmask_b32_e64 v4, 0, 1, vcc_lo
	v_lshl_or_b32 v20, v16, 16, v14
	v_sub_nc_u32_e32 v14, 0x3f1, v19
	v_lshrrev_b32_e32 v2, 2, v2
	v_cmp_lt_i32_e32 vcc_lo, 5, v15
	v_and_or_b32 v4, 0xffe, v17, v4
	v_cmp_eq_u32_e64 s0, 3, v15
	v_med3_i32 v17, v14, 0, 13
	v_add_nc_u32_e32 v19, 0xfffffc10, v19
	s_delay_alu instid0(VALU_DEP_4)
	v_or_b32_e32 v16, 0x1000, v4
	s_wait_dscnt 0x0
	v_lshrrev_b32_e32 v22, 16, v10
	s_or_b32 vcc_lo, s0, vcc_lo
	s_wait_alu 0xfffe
	v_add_co_ci_u32_e32 v2, vcc_lo, 0, v2, vcc_lo
	v_lshrrev_b32_e32 v24, v17, v16
	v_add_co_u32 v14, vcc_lo, v6, s4
	v_mul_f16_e32 v23, v106, v22
	s_wait_alu 0xfffd
	v_add_co_ci_u32_e32 v15, vcc_lo, s5, v7, vcc_lo
	v_cmp_gt_i32_e32 vcc_lo, 31, v18
	v_lshlrev_b32_e32 v17, v17, v24
	v_fmac_f16_e32 v23, v96, v10
	v_and_or_b32 v8, 0x1ff, v9, v8
	v_bfe_u32 v26, v9, 20, 11
	s_wait_alu 0xfffd
	v_cndmask_b32_e32 v2, 0x7c00, v2, vcc_lo
	v_cmp_ne_u32_e32 vcc_lo, v17, v16
	v_cvt_f32_f16_e32 v23, v23
	v_mul_f64_e32 v[12:13], s[8:9], v[12:13]
	s_clause 0x1
	global_store_b32 v[6:7], v21, off
	global_store_b32 v[14:15], v20, off
	v_mul_f16_e32 v7, v106, v10
	s_wait_alu 0xfffd
	v_cndmask_b32_e64 v25, 0, 1, vcc_lo
	v_cmp_ne_u32_e32 vcc_lo, 0, v8
	v_cvt_f64_f32_e32 v[16:17], v23
	v_lshrrev_b32_e32 v23, 8, v9
	s_delay_alu instid0(VALU_DEP_4) | instskip(SKIP_4) | instid1(VALU_DEP_3)
	v_or_b32_e32 v24, v24, v25
	s_wait_alu 0xfffd
	v_cndmask_b32_e64 v8, 0, 1, vcc_lo
	v_cmp_ne_u32_e32 vcc_lo, 0, v0
	v_lshl_or_b32 v25, v19, 12, v4
	v_and_or_b32 v8, 0xffe, v23, v8
	s_wait_alu 0xfffd
	v_cndmask_b32_e64 v0, 0, 1, vcc_lo
	v_sub_nc_u32_e32 v23, 0x3f1, v26
	v_cmp_gt_i32_e32 vcc_lo, 1, v19
	v_or_b32_e32 v27, 0x1000, v8
	s_delay_alu instid0(VALU_DEP_4) | instskip(NEXT) | instid1(VALU_DEP_4)
	v_lshl_or_b32 v0, v0, 9, 0x7c00
	v_med3_i32 v23, v23, 0, 13
	s_wait_alu 0xfffd
	v_cndmask_b32_e32 v24, v25, v24, vcc_lo
	v_cmp_eq_u32_e32 vcc_lo, 0x40f, v18
	s_delay_alu instid0(VALU_DEP_2) | instskip(SKIP_3) | instid1(VALU_DEP_3)
	v_and_b32_e32 v18, 7, v24
	s_wait_alu 0xfffd
	v_cndmask_b32_e32 v0, v2, v0, vcc_lo
	v_lshrrev_b32_e32 v2, v23, v27
	v_cmp_lt_i32_e32 vcc_lo, 5, v18
	v_cmp_eq_u32_e64 s0, 3, v18
	s_delay_alu instid0(VALU_DEP_3)
	v_lshlrev_b32_e32 v6, v23, v2
	v_and_or_b32 v20, 0x8000, v1, v0
	v_lshrrev_b32_e32 v0, 2, v24
	v_add_nc_u32_e32 v18, 0xfffffc10, v26
	s_or_b32 vcc_lo, s0, vcc_lo
	v_cmp_ne_u32_e64 s1, v6, v27
	v_and_or_b32 v10, 0x1ff, v13, v12
	s_wait_alu 0xfffe
	v_add_co_ci_u32_e32 v21, vcc_lo, 0, v0, vcc_lo
	v_lshl_or_b32 v6, v18, 12, v8
	s_wait_alu 0xf1ff
	v_cndmask_b32_e64 v1, 0, 1, s1
	v_cmp_gt_i32_e32 vcc_lo, 1, v18
	v_bfe_u32 v12, v13, 20, 11
	v_cmp_eq_u32_e64 s1, 0x40f, v19
	v_and_b32_e32 v20, 0xffff, v20
	v_or_b32_e32 v2, v2, v1
	v_mul_f64_e32 v[0:1], s[8:9], v[16:17]
	v_sub_nc_u32_e32 v17, 0x3f1, v12
	v_add_nc_u32_e32 v12, 0xfffffc10, v12
	s_wait_alu 0xfffd
	v_cndmask_b32_e32 v2, v6, v2, vcc_lo
	v_cmp_ne_u32_e32 vcc_lo, 0, v10
	v_fma_f16 v6, v96, v22, -v7
	v_lshrrev_b32_e32 v10, 8, v13
	v_med3_i32 v17, v17, 0, 13
	v_and_b32_e32 v16, 7, v2
	s_wait_alu 0xfffd
	v_cndmask_b32_e64 v7, 0, 1, vcc_lo
	v_cmp_ne_u32_e32 vcc_lo, 0, v4
	v_cvt_f32_f16_e32 v6, v6
	v_lshrrev_b32_e32 v2, 2, v2
	v_cmp_eq_u32_e64 s0, 3, v16
	v_and_or_b32 v10, 0xffe, v10, v7
	s_wait_alu 0xfffd
	v_cndmask_b32_e64 v4, 0, 1, vcc_lo
	v_cmp_gt_i32_e32 vcc_lo, 31, v19
	v_cvt_f64_f32_e32 v[6:7], v6
	v_or_b32_e32 v22, 0x1000, v10
	s_delay_alu instid0(VALU_DEP_4)
	v_lshl_or_b32 v4, v4, 9, 0x7c00
	s_wait_alu 0xfffd
	v_cndmask_b32_e32 v21, 0x7c00, v21, vcc_lo
	v_cmp_lt_i32_e32 vcc_lo, 5, v16
	v_lshrrev_b32_e32 v16, v17, v22
	s_wait_alu 0xf1ff
	s_delay_alu instid0(VALU_DEP_3)
	v_cndmask_b32_e64 v4, v21, v4, s1
	s_or_b32 vcc_lo, s0, vcc_lo
	s_wait_alu 0xfffe
	v_add_co_ci_u32_e32 v2, vcc_lo, 0, v2, vcc_lo
	v_cmp_gt_i32_e32 vcc_lo, 31, v18
	v_lshlrev_b32_e32 v17, v17, v16
	v_and_or_b32 v19, 0x8000, v5, v4
	v_lshl_or_b32 v5, v12, 12, v10
	s_wait_alu 0xfffd
	v_cndmask_b32_e32 v2, 0x7c00, v2, vcc_lo
	v_cmp_ne_u32_e32 vcc_lo, v17, v22
	v_and_or_b32 v0, 0x1ff, v1, v0
	v_lshrrev_b32_e32 v17, 16, v3
	v_lshrrev_b32_e32 v21, 8, v1
	v_bfe_u32 v22, v1, 20, 11
	s_wait_alu 0xfffd
	v_cndmask_b32_e64 v4, 0, 1, vcc_lo
	v_cmp_ne_u32_e32 vcc_lo, 0, v8
	s_delay_alu instid0(VALU_DEP_2) | instskip(SKIP_4) | instid1(VALU_DEP_3)
	v_or_b32_e32 v4, v16, v4
	s_wait_alu 0xfffd
	v_cndmask_b32_e64 v8, 0, 1, vcc_lo
	v_cmp_ne_u32_e32 vcc_lo, 0, v0
	v_mul_f16_e32 v16, v103, v17
	v_lshl_or_b32 v8, v8, 9, 0x7c00
	s_wait_alu 0xfffd
	v_cndmask_b32_e64 v0, 0, 1, vcc_lo
	v_cmp_gt_i32_e32 vcc_lo, 1, v12
	v_fmac_f16_e32 v16, v94, v3
	v_mul_f16_e32 v3, v103, v3
	s_delay_alu instid0(VALU_DEP_4)
	v_and_or_b32 v0, 0xffe, v21, v0
	s_wait_alu 0xfffd
	v_cndmask_b32_e32 v23, v5, v4, vcc_lo
	v_mul_f64_e32 v[4:5], s[8:9], v[6:7]
	v_sub_nc_u32_e32 v6, 0x3f1, v22
	v_cvt_f32_f16_e32 v7, v16
	v_cmp_eq_u32_e32 vcc_lo, 0x40f, v18
	v_and_b32_e32 v16, 7, v23
	v_or_b32_e32 v21, 0x1000, v0
	v_med3_i32 v24, v6, 0, 13
	v_cvt_f64_f32_e32 v[6:7], v7
	s_wait_alu 0xfffd
	v_cndmask_b32_e32 v2, v2, v8, vcc_lo
	v_cmp_lt_i32_e32 vcc_lo, 5, v16
	v_cmp_eq_u32_e64 s0, 3, v16
	v_lshrrev_b32_e32 v18, 2, v23
	v_lshrrev_b32_e32 v8, 16, v9
	v_lshrrev_b32_e32 v9, v24, v21
	v_lshl_or_b32 v16, v19, 16, v20
	s_or_b32 vcc_lo, s0, vcc_lo
	v_add_nc_u32_e32 v19, 0xfffffc10, v22
	s_wait_alu 0xfffe
	v_add_co_ci_u32_e32 v18, vcc_lo, 0, v18, vcc_lo
	v_and_or_b32 v2, 0x8000, v8, v2
	v_lshlrev_b32_e32 v8, v24, v9
	v_cmp_ne_u32_e32 vcc_lo, 0, v10
	v_fma_f16 v3, v94, v17, -v3
	v_add_nc_u32_e32 v23, 0xc00, v72
	s_wait_alu 0xfffd
	v_cndmask_b32_e64 v10, 0, 1, vcc_lo
	v_cmp_ne_u32_e32 vcc_lo, v8, v21
	s_delay_alu instid0(VALU_DEP_2) | instskip(SKIP_3) | instid1(VALU_DEP_2)
	v_lshl_or_b32 v10, v10, 9, 0x7c00
	s_wait_alu 0xfffd
	v_cndmask_b32_e64 v8, 0, 1, vcc_lo
	v_cmp_gt_i32_e32 vcc_lo, 31, v12
	v_or_b32_e32 v8, v9, v8
	s_wait_alu 0xfffd
	v_cndmask_b32_e32 v18, 0x7c00, v18, vcc_lo
	v_cmp_eq_u32_e32 vcc_lo, 0x40f, v12
	v_lshl_or_b32 v9, v19, 12, v0
	v_and_or_b32 v4, 0x1ff, v5, v4
	v_lshrrev_b32_e32 v12, 16, v13
	v_bfe_u32 v20, v5, 20, 11
	s_wait_alu 0xfffd
	v_cndmask_b32_e32 v10, v18, v10, vcc_lo
	v_cmp_gt_i32_e32 vcc_lo, 1, v19
	v_lshrrev_b32_e32 v18, 8, v5
	v_lshrrev_b32_e32 v5, 16, v5
	s_delay_alu instid0(VALU_DEP_4)
	v_and_or_b32 v10, 0x8000, v12, v10
	s_wait_alu 0xfffd
	v_cndmask_b32_e32 v13, v9, v8, vcc_lo
	v_cvt_f32_f16_e32 v8, v3
	v_cmp_ne_u32_e32 vcc_lo, 0, v4
	v_and_b32_e32 v12, 0xffff, v2
	v_mul_f64_e32 v[2:3], s[8:9], v[6:7]
	v_and_b32_e32 v17, 7, v13
	v_cvt_f64_f32_e32 v[6:7], v8
	s_wait_alu 0xfffd
	v_cndmask_b32_e64 v4, 0, 1, vcc_lo
	v_lshl_or_b32 v10, v10, 16, v12
	v_sub_nc_u32_e32 v12, 0x3f1, v20
	v_add_co_u32 v8, vcc_lo, v14, s2
	s_delay_alu instid0(VALU_DEP_4)
	v_and_or_b32 v4, 0xffe, v18, v4
	s_wait_alu 0xfffd
	v_add_co_ci_u32_e32 v9, vcc_lo, s3, v15, vcc_lo
	v_cmp_lt_i32_e32 vcc_lo, 5, v17
	v_cmp_eq_u32_e64 s0, 3, v17
	v_or_b32_e32 v15, 0x1000, v4
	v_med3_i32 v17, v12, 0, 13
	v_lshrrev_b32_e32 v14, 2, v13
	v_add_co_u32 v12, s1, v8, s4
	s_or_b32 vcc_lo, s0, vcc_lo
	s_delay_alu instid0(VALU_DEP_3)
	v_lshrrev_b32_e32 v18, v17, v15
	s_wait_alu 0xfffe
	v_add_co_ci_u32_e32 v14, vcc_lo, 0, v14, vcc_lo
	v_add_co_ci_u32_e64 v13, s1, s5, v9, s1
	global_store_b32 v[8:9], v16, off
	v_lshlrev_b32_e32 v8, v17, v18
	v_cmp_gt_i32_e32 vcc_lo, 31, v19
	global_store_b32 v[12:13], v10, off
	s_wait_alu 0xfffd
	v_cndmask_b32_e32 v10, 0x7c00, v14, vcc_lo
	v_cmp_ne_u32_e32 vcc_lo, v8, v15
	v_add_nc_u32_e32 v15, 0xfffffc10, v20
	v_lshrrev_b32_e32 v14, 16, v11
	s_wait_alu 0xfffd
	v_cndmask_b32_e64 v8, 0, 1, vcc_lo
	v_cmp_ne_u32_e32 vcc_lo, 0, v0
	v_lshl_or_b32 v16, v15, 12, v4
	v_and_or_b32 v2, 0x1ff, v3, v2
	v_mul_f16_e32 v9, v101, v14
	v_or_b32_e32 v8, v18, v8
	s_wait_alu 0xfffd
	v_cndmask_b32_e64 v0, 0, 1, vcc_lo
	v_cmp_gt_i32_e32 vcc_lo, 1, v15
	v_mul_f64_e32 v[6:7], s[8:9], v[6:7]
	v_fmac_f16_e32 v9, v92, v11
	v_bfe_u32 v17, v3, 20, 11
	v_lshl_or_b32 v0, v0, 9, 0x7c00
	s_wait_alu 0xfffd
	v_cndmask_b32_e32 v16, v16, v8, vcc_lo
	v_cmp_ne_u32_e32 vcc_lo, 0, v2
	v_lshrrev_b32_e32 v8, 8, v3
	v_cvt_f32_f16_e32 v9, v9
	v_sub_nc_u32_e32 v20, 0x3f1, v17
	v_and_b32_e32 v18, 7, v16
	s_wait_alu 0xfffd
	v_cndmask_b32_e64 v2, 0, 1, vcc_lo
	v_cmp_eq_u32_e32 vcc_lo, 0x40f, v19
	s_delay_alu instid0(VALU_DEP_3) | instskip(NEXT) | instid1(VALU_DEP_3)
	v_cmp_eq_u32_e64 s0, 3, v18
	v_and_or_b32 v2, 0xffe, v8, v2
	v_cvt_f64_f32_e32 v[8:9], v9
	s_wait_alu 0xfffd
	v_cndmask_b32_e32 v19, v10, v0, vcc_lo
	v_cmp_lt_i32_e32 vcc_lo, 5, v18
	v_lshrrev_b32_e32 v18, 16, v1
	v_lshrrev_b32_e32 v1, 2, v16
	v_or_b32_e32 v10, 0x1000, v2
	v_mul_f16_e32 v0, v101, v11
	v_med3_i32 v11, v20, 0, 13
	s_or_b32 vcc_lo, s0, vcc_lo
	s_wait_alu 0xfffe
	v_add_co_ci_u32_e32 v1, vcc_lo, 0, v1, vcc_lo
	v_fma_f16 v0, v92, v14, -v0
	v_lshrrev_b32_e32 v14, v11, v10
	v_cmp_ne_u32_e32 vcc_lo, 0, v4
	s_delay_alu instid0(VALU_DEP_3)
	v_cvt_f32_f16_e32 v0, v0
	s_wait_alu 0xfffd
	v_cndmask_b32_e64 v4, 0, 1, vcc_lo
	v_cmp_gt_i32_e32 vcc_lo, 31, v15
	v_lshlrev_b32_e32 v11, v11, v14
	v_and_or_b32 v6, 0x1ff, v7, v6
	v_bfe_u32 v20, v7, 20, 11
	v_lshl_or_b32 v4, v4, 9, 0x7c00
	s_wait_alu 0xfffd
	v_cndmask_b32_e32 v16, 0x7c00, v1, vcc_lo
	v_cmp_ne_u32_e32 vcc_lo, v11, v10
	v_cvt_f64_f32_e32 v[0:1], v0
	s_wait_alu 0xfffd
	v_cndmask_b32_e64 v10, 0, 1, vcc_lo
	v_cmp_eq_u32_e32 vcc_lo, 0x40f, v15
	v_add_nc_u32_e32 v17, 0xfffffc10, v17
	s_delay_alu instid0(VALU_DEP_3)
	v_or_b32_e32 v14, v14, v10
	s_wait_alu 0xfffd
	v_cndmask_b32_e32 v4, v16, v4, vcc_lo
	v_cmp_ne_u32_e32 vcc_lo, 0, v6
	v_lshl_or_b32 v15, v17, 12, v2
	v_mul_f64_e32 v[8:9], s[8:9], v[8:9]
	v_lshrrev_b32_e32 v16, 8, v7
	v_and_or_b32 v4, 0x8000, v5, v4
	s_wait_alu 0xfffd
	v_cndmask_b32_e64 v6, 0, 1, vcc_lo
	v_cmp_gt_i32_e32 vcc_lo, 1, v17
	v_add_nc_u32_e32 v11, 0x200, v72
	v_lshrrev_b32_e32 v7, 16, v7
	s_delay_alu instid0(VALU_DEP_4)
	v_and_or_b32 v6, 0xffe, v16, v6
	s_wait_alu 0xfffd
	v_cndmask_b32_e32 v14, v15, v14, vcc_lo
	ds_load_2addr_b32 v[10:11], v11 offset0:124 offset1:187
	v_and_or_b32 v15, 0x8000, v18, v19
	v_sub_nc_u32_e32 v16, 0x3f1, v20
	v_and_b32_e32 v18, 7, v14
	s_delay_alu instid0(VALU_DEP_3) | instskip(SKIP_1) | instid1(VALU_DEP_4)
	v_and_b32_e32 v5, 0xffff, v15
	v_or_b32_e32 v15, 0x1000, v6
	v_med3_i32 v16, v16, 0, 13
	s_delay_alu instid0(VALU_DEP_4) | instskip(SKIP_4) | instid1(VALU_DEP_4)
	v_cmp_lt_i32_e32 vcc_lo, 5, v18
	v_cmp_eq_u32_e64 s0, 3, v18
	v_lshl_or_b32 v18, v4, 16, v5
	v_lshrrev_b32_e32 v4, 2, v14
	v_lshrrev_b32_e32 v14, v16, v15
	s_or_b32 vcc_lo, s0, vcc_lo
	v_mul_f64_e32 v[0:1], s[8:9], v[0:1]
	s_wait_alu 0xfffe
	v_add_co_ci_u32_e32 v21, vcc_lo, 0, v4, vcc_lo
	v_add_co_u32 v4, vcc_lo, v12, s2
	s_wait_dscnt 0x0
	v_lshrrev_b32_e32 v19, 16, v10
	s_wait_alu 0xfffd
	v_add_co_ci_u32_e32 v5, vcc_lo, s3, v13, vcc_lo
	v_lshlrev_b32_e32 v16, v16, v14
	v_cmp_gt_i32_e32 vcc_lo, 31, v17
	v_mul_f16_e32 v22, v99, v19
	global_store_b32 v[4:5], v18, off
	v_and_or_b32 v8, 0x1ff, v9, v8
	s_wait_alu 0xfffd
	v_cndmask_b32_e32 v21, 0x7c00, v21, vcc_lo
	v_cmp_ne_u32_e32 vcc_lo, v16, v15
	v_fmac_f16_e32 v22, v90, v10
	v_add_nc_u32_e32 v16, 0xfffffc10, v20
	v_bfe_u32 v20, v9, 20, 11
	s_wait_alu 0xfffd
	v_cndmask_b32_e64 v12, 0, 1, vcc_lo
	v_cmp_ne_u32_e32 vcc_lo, 0, v2
	v_cvt_f32_f16_e32 v13, v22
	v_lshl_or_b32 v15, v16, 12, v6
	s_delay_alu instid0(VALU_DEP_4) | instskip(SKIP_4) | instid1(VALU_DEP_3)
	v_or_b32_e32 v14, v14, v12
	s_wait_alu 0xfffd
	v_cndmask_b32_e64 v2, 0, 1, vcc_lo
	v_cmp_gt_i32_e32 vcc_lo, 1, v16
	v_cvt_f64_f32_e32 v[12:13], v13
	v_lshl_or_b32 v2, v2, 9, 0x7c00
	s_wait_alu 0xfffd
	v_cndmask_b32_e32 v14, v15, v14, vcc_lo
	v_cmp_ne_u32_e32 vcc_lo, 0, v8
	v_lshrrev_b32_e32 v15, 8, v9
	v_lshrrev_b32_e32 v9, 16, v9
	s_delay_alu instid0(VALU_DEP_4)
	v_and_b32_e32 v22, 7, v14
	s_wait_alu 0xfffd
	v_cndmask_b32_e64 v8, 0, 1, vcc_lo
	v_cmp_eq_u32_e32 vcc_lo, 0x40f, v17
	v_lshrrev_b32_e32 v14, 2, v14
	v_and_or_b32 v0, 0x1ff, v1, v0
	v_cmp_eq_u32_e64 s0, 3, v22
	v_and_or_b32 v8, 0xffe, v15, v8
	s_wait_alu 0xfffd
	v_cndmask_b32_e32 v17, v21, v2, vcc_lo
	v_sub_nc_u32_e32 v2, 0x3f1, v20
	v_cmp_lt_i32_e32 vcc_lo, 5, v22
	v_lshrrev_b32_e32 v21, 16, v3
	v_or_b32_e32 v15, 0x1000, v8
	v_mul_f16_e32 v3, v99, v10
	v_med3_i32 v2, v2, 0, 13
	s_or_b32 vcc_lo, s0, vcc_lo
	v_lshrrev_b32_e32 v10, 8, v1
	s_wait_alu 0xfffe
	v_add_co_ci_u32_e32 v22, vcc_lo, 0, v14, vcc_lo
	v_lshrrev_b32_e32 v14, v2, v15
	v_cmp_ne_u32_e32 vcc_lo, 0, v6
	v_fma_f16 v3, v90, v19, -v3
	v_bfe_u32 v19, v1, 20, 11
	v_add_nc_u32_e32 v20, 0xfffffc10, v20
	v_lshlrev_b32_e32 v2, v2, v14
	s_wait_alu 0xfffd
	v_cndmask_b32_e64 v6, 0, 1, vcc_lo
	v_cmp_ne_u32_e32 vcc_lo, 0, v0
	v_cvt_f32_f16_e32 v3, v3
	v_lshl_or_b32 v25, v20, 12, v8
	v_cmp_eq_u32_e64 s1, 0x40f, v20
	v_mul_f64_e32 v[12:13], s[8:9], v[12:13]
	s_wait_alu 0xfffd
	v_cndmask_b32_e64 v0, 0, 1, vcc_lo
	v_cmp_ne_u32_e32 vcc_lo, v2, v15
	v_cvt_f64_f32_e32 v[2:3], v3
	v_lshl_or_b32 v6, v6, 9, 0x7c00
	s_delay_alu instid0(VALU_DEP_4)
	v_and_or_b32 v0, 0xffe, v10, v0
	s_wait_alu 0xfffd
	v_cndmask_b32_e64 v15, 0, 1, vcc_lo
	v_sub_nc_u32_e32 v10, 0x3f1, v19
	v_cmp_gt_i32_e32 vcc_lo, 31, v16
	v_or_b32_e32 v26, 0x1000, v0
	s_delay_alu instid0(VALU_DEP_4) | instskip(NEXT) | instid1(VALU_DEP_4)
	v_or_b32_e32 v24, v14, v15
	v_med3_i32 v10, v10, 0, 13
	s_wait_alu 0xfffd
	v_cndmask_b32_e32 v22, 0x7c00, v22, vcc_lo
	v_cmp_gt_i32_e32 vcc_lo, 1, v20
	ds_load_2addr_b32 v[14:15], v23 offset0:114 offset1:177
	s_wait_alu 0xfffd
	v_cndmask_b32_e32 v23, v25, v24, vcc_lo
	v_lshrrev_b32_e32 v24, v10, v26
	v_cmp_eq_u32_e32 vcc_lo, 0x40f, v16
	v_and_or_b32 v16, 0x8000, v21, v17
	v_lshrrev_b32_e32 v25, 16, v81
	v_and_b32_e32 v17, 7, v23
	v_lshlrev_b32_e32 v10, v10, v24
	s_wait_alu 0xfffd
	v_cndmask_b32_e32 v6, v22, v6, vcc_lo
	v_and_b32_e32 v16, 0xffff, v16
	v_cmp_lt_i32_e32 vcc_lo, 5, v17
	v_cmp_ne_u32_e64 s0, v10, v26
	s_delay_alu instid0(VALU_DEP_4)
	v_and_or_b32 v18, 0x8000, v7, v6
	v_lshrrev_b32_e32 v7, 2, v23
	v_add_nc_u32_e32 v10, 0xfffffc10, v19
	v_lshrrev_b32_e32 v26, 16, v74
	s_wait_alu 0xf1ff
	v_cndmask_b32_e64 v6, 0, 1, s0
	v_cmp_eq_u32_e64 s0, 3, v17
	s_wait_dscnt 0x0
	v_lshrrev_b32_e32 v19, 16, v14
	v_lshl_or_b32 v17, v10, 12, v0
	v_lshrrev_b32_e32 v23, 8, v13
	v_or_b32_e32 v6, v24, v6
	s_or_b32 vcc_lo, s0, vcc_lo
	v_mul_f16_e32 v21, v97, v19
	s_wait_alu 0xfffe
	v_add_co_ci_u32_e32 v22, vcc_lo, 0, v7, vcc_lo
	v_cmp_gt_i32_e32 vcc_lo, 1, v10
	v_mul_f64_e32 v[2:3], s[8:9], v[2:3]
	v_fmac_f16_e32 v21, v88, v14
	v_bfe_u32 v24, v13, 20, 11
	v_lshl_or_b32 v16, v18, 16, v16
	s_wait_alu 0xfffd
	v_cndmask_b32_e32 v17, v17, v6, vcc_lo
	v_and_or_b32 v6, 0x1ff, v13, v12
	v_cmp_ne_u32_e32 vcc_lo, 0, v8
	v_cvt_f32_f16_e32 v7, v21
	v_lshrrev_b32_e32 v13, 16, v13
	v_and_b32_e32 v12, 7, v17
	v_lshrrev_b32_e32 v17, 2, v17
	s_wait_alu 0xfffd
	v_cndmask_b32_e64 v8, 0, 1, vcc_lo
	v_cmp_ne_u32_e32 vcc_lo, 0, v6
	v_cvt_f64_f32_e32 v[6:7], v7
	v_cmp_eq_u32_e64 s0, 3, v12
	s_delay_alu instid0(VALU_DEP_4) | instskip(SKIP_3) | instid1(VALU_DEP_2)
	v_lshl_or_b32 v8, v8, 9, 0x7c00
	s_wait_alu 0xfffd
	v_cndmask_b32_e64 v21, 0, 1, vcc_lo
	v_cmp_gt_i32_e32 vcc_lo, 31, v20
	v_and_or_b32 v21, 0xffe, v23, v21
	v_sub_nc_u32_e32 v23, 0x3f1, v24
	s_wait_alu 0xfffd
	v_cndmask_b32_e32 v22, 0x7c00, v22, vcc_lo
	v_cmp_lt_i32_e32 vcc_lo, 5, v12
	v_or_b32_e32 v12, 0x1000, v21
	v_med3_i32 v23, v23, 0, 13
	s_delay_alu instid0(VALU_DEP_4)
	v_cndmask_b32_e64 v8, v22, v8, s1
	s_or_b32 vcc_lo, s0, vcc_lo
	s_wait_alu 0xfffe
	v_add_co_ci_u32_e32 v17, vcc_lo, 0, v17, vcc_lo
	v_lshrrev_b32_e32 v20, v23, v12
	v_cmp_gt_i32_e32 vcc_lo, 31, v10
	v_and_or_b32 v22, 0x8000, v9, v8
	v_mul_f16_e32 v8, v97, v14
	v_and_or_b32 v2, 0x1ff, v3, v2
	s_wait_alu 0xfffd
	v_dual_cndmask_b32 v17, 0x7c00, v17 :: v_dual_lshlrev_b32 v18, v23, v20
	s_delay_alu instid0(VALU_DEP_3) | instskip(SKIP_1) | instid1(VALU_DEP_3)
	v_fma_f16 v8, v88, v19, -v8
	v_lshrrev_b32_e32 v19, 8, v3
	v_cmp_ne_u32_e32 vcc_lo, v18, v12
	v_add_nc_u32_e32 v12, 0xfffffc10, v24
	s_delay_alu instid0(VALU_DEP_4)
	v_cvt_f32_f16_e32 v8, v8
	s_wait_alu 0xfffd
	v_cndmask_b32_e64 v9, 0, 1, vcc_lo
	v_cmp_ne_u32_e32 vcc_lo, 0, v0
	v_lshl_or_b32 v18, v12, 12, v21
	v_mul_f64_e32 v[6:7], s[8:9], v[6:7]
	v_cmp_eq_u32_e64 s1, 0x40f, v12
	v_or_b32_e32 v14, v20, v9
	s_wait_alu 0xfffd
	v_cndmask_b32_e64 v0, 0, 1, vcc_lo
	v_cmp_ne_u32_e32 vcc_lo, 0, v2
	v_bfe_u32 v20, v3, 20, 11
	v_cvt_f64_f32_e32 v[8:9], v8
	v_lshrrev_b32_e32 v3, 16, v3
	v_lshl_or_b32 v0, v0, 9, 0x7c00
	s_wait_alu 0xfffd
	v_cndmask_b32_e64 v2, 0, 1, vcc_lo
	v_cmp_gt_i32_e32 vcc_lo, 1, v12
	s_delay_alu instid0(VALU_DEP_2)
	v_and_or_b32 v2, 0xffe, v19, v2
	s_wait_alu 0xfffd
	v_cndmask_b32_e32 v14, v18, v14, vcc_lo
	v_sub_nc_u32_e32 v18, 0x3f1, v20
	v_cmp_eq_u32_e32 vcc_lo, 0x40f, v10
	v_or_b32_e32 v23, 0x1000, v2
	s_delay_alu instid0(VALU_DEP_4) | instskip(NEXT) | instid1(VALU_DEP_4)
	v_and_b32_e32 v19, 7, v14
	v_med3_i32 v18, v18, 0, 13
	s_wait_alu 0xfffd
	v_cndmask_b32_e32 v10, v17, v0, vcc_lo
	v_lshrrev_b32_e32 v17, 16, v1
	v_add_co_u32 v0, vcc_lo, v4, s4
	s_wait_alu 0xfffd
	v_add_co_ci_u32_e32 v1, vcc_lo, s5, v5, vcc_lo
	s_delay_alu instid0(VALU_DEP_3)
	v_and_or_b32 v4, 0x8000, v17, v10
	v_and_b32_e32 v5, 0xffff, v22
	v_lshrrev_b32_e32 v10, v18, v23
	v_cmp_lt_i32_e32 vcc_lo, 5, v19
	v_cmp_eq_u32_e64 s0, 3, v19
	v_lshrrev_b32_e32 v14, 2, v14
	global_store_b32 v[0:1], v16, off
	v_lshl_or_b32 v16, v4, 16, v5
	v_lshlrev_b32_e32 v4, v18, v10
	s_or_b32 vcc_lo, s0, vcc_lo
	v_and_or_b32 v6, 0x1ff, v7, v6
	s_wait_alu 0xfffe
	v_add_co_ci_u32_e32 v5, vcc_lo, 0, v14, vcc_lo
	v_cmp_ne_u32_e32 vcc_lo, v4, v23
	v_lshrrev_b32_e32 v14, 16, v11
	s_wait_alu 0xfffd
	v_cndmask_b32_e64 v4, 0, 1, vcc_lo
	v_cmp_gt_i32_e32 vcc_lo, 31, v12
	s_delay_alu instid0(VALU_DEP_3) | instskip(NEXT) | instid1(VALU_DEP_3)
	v_mul_f16_e32 v19, v95, v14
	v_or_b32_e32 v10, v10, v4
	v_add_nc_u32_e32 v17, 0xfffffc10, v20
	s_wait_alu 0xfffd
	v_cndmask_b32_e32 v18, 0x7c00, v5, vcc_lo
	v_mul_f64_e32 v[4:5], s[8:9], v[8:9]
	v_fmac_f16_e32 v19, v86, v11
	v_mul_f16_e32 v11, v95, v11
	v_lshl_or_b32 v20, v17, 12, v2
	v_cmp_gt_i32_e32 vcc_lo, 1, v17
	s_delay_alu instid0(VALU_DEP_4)
	v_cvt_f32_f16_e32 v8, v19
	v_bfe_u32 v19, v7, 20, 11
	v_fma_f16 v11, v86, v14, -v11
	s_wait_alu 0xfffd
	v_cndmask_b32_e32 v10, v20, v10, vcc_lo
	v_cmp_ne_u32_e32 vcc_lo, 0, v6
	v_lshrrev_b32_e32 v20, 8, v7
	v_cvt_f64_f32_e32 v[8:9], v8
	s_delay_alu instid0(VALU_DEP_4)
	v_and_b32_e32 v22, 7, v10
	s_wait_alu 0xfffd
	v_cndmask_b32_e64 v6, 0, 1, vcc_lo
	v_cmp_ne_u32_e32 vcc_lo, 0, v21
	v_lshrrev_b32_e32 v10, 2, v10
	v_cmp_eq_u32_e64 s0, 3, v22
	s_delay_alu instid0(VALU_DEP_4)
	v_and_or_b32 v6, 0xffe, v20, v6
	s_wait_alu 0xfffd
	v_cndmask_b32_e64 v21, 0, 1, vcc_lo
	v_sub_nc_u32_e32 v20, 0x3f1, v19
	v_cmp_lt_i32_e32 vcc_lo, 5, v22
	v_or_b32_e32 v22, 0x1000, v6
	s_delay_alu instid0(VALU_DEP_4) | instskip(NEXT) | instid1(VALU_DEP_4)
	v_lshl_or_b32 v21, v21, 9, 0x7c00
	v_med3_i32 v20, v20, 0, 13
	s_or_b32 vcc_lo, s0, vcc_lo
	s_wait_alu 0xfffe
	v_add_co_ci_u32_e32 v10, vcc_lo, 0, v10, vcc_lo
	v_cndmask_b32_e64 v12, v18, v21, s1
	v_lshrrev_b32_e32 v18, v20, v22
	v_cmp_ne_u32_e32 vcc_lo, 0, v2
	v_add_co_u32 v0, s1, v0, s2
	s_delay_alu instid0(VALU_DEP_4) | instskip(NEXT) | instid1(VALU_DEP_4)
	v_and_or_b32 v12, 0x8000, v13, v12
	v_lshlrev_b32_e32 v20, v20, v18
	s_wait_alu 0xfffd
	v_cndmask_b32_e64 v2, 0, 1, vcc_lo
	v_cmp_gt_i32_e32 vcc_lo, 31, v17
	v_and_or_b32 v4, 0x1ff, v5, v4
	s_wait_alu 0xf1ff
	v_add_co_ci_u32_e64 v1, s1, s3, v1, s1
	v_lshl_or_b32 v2, v2, 9, 0x7c00
	s_wait_alu 0xfffd
	v_cndmask_b32_e32 v10, 0x7c00, v10, vcc_lo
	v_cmp_ne_u32_e32 vcc_lo, v20, v22
	v_mul_f64_e32 v[8:9], s[8:9], v[8:9]
	s_wait_alu 0xfffd
	v_cndmask_b32_e64 v20, 0, 1, vcc_lo
	v_cmp_eq_u32_e32 vcc_lo, 0x40f, v17
	v_add_nc_u32_e32 v19, 0xfffffc10, v19
	s_delay_alu instid0(VALU_DEP_3)
	v_or_b32_e32 v14, v18, v20
	s_wait_alu 0xfffd
	v_cndmask_b32_e32 v2, v10, v2, vcc_lo
	v_cmp_ne_u32_e32 vcc_lo, 0, v4
	v_lshl_or_b32 v17, v19, 12, v6
	v_lshrrev_b32_e32 v18, 8, v5
	v_bfe_u32 v20, v5, 20, 11
	v_cvt_f32_f16_e32 v10, v11
	s_wait_alu 0xfffd
	v_cndmask_b32_e64 v4, 0, 1, vcc_lo
	v_cmp_gt_i32_e32 vcc_lo, 1, v19
	v_and_or_b32 v2, 0x8000, v3, v2
	v_and_b32_e32 v3, 0xffff, v12
	v_cvt_f64_f32_e32 v[10:11], v10
	v_and_or_b32 v4, 0xffe, v18, v4
	s_wait_alu 0xfffd
	v_cndmask_b32_e32 v14, v17, v14, vcc_lo
	v_sub_nc_u32_e32 v17, 0x3f1, v20
	s_delay_alu instid0(VALU_DEP_3) | instskip(NEXT) | instid1(VALU_DEP_3)
	v_or_b32_e32 v18, 0x1000, v4
	v_and_b32_e32 v13, 7, v14
	s_delay_alu instid0(VALU_DEP_3) | instskip(NEXT) | instid1(VALU_DEP_2)
	v_med3_i32 v17, v17, 0, 13
	v_cmp_lt_i32_e32 vcc_lo, 5, v13
	s_delay_alu instid0(VALU_DEP_2) | instskip(SKIP_2) | instid1(VALU_DEP_3)
	v_lshrrev_b32_e32 v12, v17, v18
	v_cmp_eq_u32_e64 s0, 3, v13
	v_lshrrev_b32_e32 v13, 2, v14
	v_lshlrev_b32_e32 v14, v17, v12
	s_delay_alu instid0(VALU_DEP_3)
	s_or_b32 vcc_lo, s0, vcc_lo
	v_lshl_or_b32 v17, v2, 16, v3
	s_wait_alu 0xfffe
	v_add_co_ci_u32_e32 v2, vcc_lo, 0, v13, vcc_lo
	v_cmp_ne_u32_e32 vcc_lo, v14, v18
	v_and_or_b32 v8, 0x1ff, v9, v8
	s_wait_alu 0xfffd
	v_cndmask_b32_e64 v3, 0, 1, vcc_lo
	v_cmp_ne_u32_e32 vcc_lo, 0, v6
	s_delay_alu instid0(VALU_DEP_2) | instskip(SKIP_3) | instid1(VALU_DEP_2)
	v_or_b32_e32 v12, v12, v3
	s_wait_alu 0xfffd
	v_cndmask_b32_e64 v6, 0, 1, vcc_lo
	v_cmp_gt_i32_e32 vcc_lo, 31, v19
	v_lshl_or_b32 v6, v6, 9, 0x7c00
	s_wait_alu 0xfffd
	v_cndmask_b32_e32 v14, 0x7c00, v2, vcc_lo
	v_add_nc_u32_e32 v13, 0xfffffc10, v20
	v_lshrrev_b32_e32 v20, 16, v15
	v_mul_f64_e32 v[2:3], s[8:9], v[10:11]
	s_delay_alu instid0(VALU_DEP_3) | instskip(SKIP_1) | instid1(VALU_DEP_4)
	v_lshl_or_b32 v18, v13, 12, v4
	v_cmp_gt_i32_e32 vcc_lo, 1, v13
	v_mul_f16_e32 v11, v93, v20
	s_wait_alu 0xfffd
	s_delay_alu instid0(VALU_DEP_3) | instskip(SKIP_1) | instid1(VALU_DEP_3)
	v_cndmask_b32_e32 v10, v18, v12, vcc_lo
	v_cmp_eq_u32_e32 vcc_lo, 0x40f, v19
	v_fmac_f16_e32 v11, v84, v15
	v_bfe_u32 v18, v9, 20, 11
	v_lshrrev_b32_e32 v19, 16, v7
	v_mul_f16_e32 v15, v93, v15
	s_wait_alu 0xfffd
	v_cndmask_b32_e32 v12, v14, v6, vcc_lo
	v_cmp_ne_u32_e32 vcc_lo, 0, v8
	v_and_b32_e32 v6, 7, v10
	v_lshrrev_b32_e32 v14, 8, v9
	v_cvt_f32_f16_e32 v7, v11
	v_lshrrev_b32_e32 v10, 2, v10
	s_wait_alu 0xfffd
	v_cndmask_b32_e64 v8, 0, 1, vcc_lo
	v_cmp_lt_i32_e32 vcc_lo, 5, v6
	v_cmp_eq_u32_e64 s0, 3, v6
	v_sub_nc_u32_e32 v11, 0x3f1, v18
	v_cvt_f64_f32_e32 v[6:7], v7
	v_and_or_b32 v8, 0xffe, v14, v8
	v_fma_f16 v15, v84, v20, -v15
	s_or_b32 vcc_lo, s0, vcc_lo
	v_med3_i32 v11, v11, 0, 13
	s_wait_alu 0xfffe
	v_add_co_ci_u32_e32 v10, vcc_lo, 0, v10, vcc_lo
	v_or_b32_e32 v14, 0x1000, v8
	v_cmp_ne_u32_e32 vcc_lo, 0, v4
	v_and_or_b32 v19, 0x8000, v19, v12
	v_cvt_f32_f16_e32 v12, v15
	s_delay_alu instid0(VALU_DEP_4)
	v_lshrrev_b32_e32 v21, v11, v14
	s_wait_alu 0xfffd
	v_cndmask_b32_e64 v4, 0, 1, vcc_lo
	v_cmp_gt_i32_e32 vcc_lo, 31, v13
	v_and_or_b32 v2, 0x1ff, v3, v2
	v_and_b32_e32 v19, 0xffff, v19
	v_lshlrev_b32_e32 v15, v11, v21
	v_lshl_or_b32 v4, v4, 9, 0x7c00
	s_wait_alu 0xfffd
	v_cndmask_b32_e32 v10, 0x7c00, v10, vcc_lo
	v_cmp_eq_u32_e32 vcc_lo, 0x40f, v13
	v_add_nc_u32_e32 v13, 0x400, v72
	s_wait_alu 0xfffd
	s_delay_alu instid0(VALU_DEP_3)
	v_cndmask_b32_e32 v20, v10, v4, vcc_lo
	v_cmp_ne_u32_e32 vcc_lo, v15, v14
	v_cvt_f64_f32_e32 v[10:11], v12
	v_add_nc_u32_e32 v14, 0xfffffc10, v18
	v_lshrrev_b32_e32 v12, 8, v3
	v_bfe_u32 v15, v3, 20, 11
	s_wait_alu 0xfffd
	v_cndmask_b32_e64 v4, 0, 1, vcc_lo
	v_cmp_ne_u32_e32 vcc_lo, 0, v2
	v_lshrrev_b32_e32 v18, 16, v5
	v_lshl_or_b32 v5, v14, 12, v8
	s_delay_alu instid0(VALU_DEP_4) | instskip(SKIP_4) | instid1(VALU_DEP_3)
	v_or_b32_e32 v4, v21, v4
	s_wait_alu 0xfffd
	v_cndmask_b32_e64 v2, 0, 1, vcc_lo
	v_cmp_gt_i32_e32 vcc_lo, 1, v14
	v_and_or_b32 v18, 0x8000, v18, v20
	v_and_or_b32 v2, 0xffe, v12, v2
	v_sub_nc_u32_e32 v12, 0x3f1, v15
	s_wait_alu 0xfffd
	v_cndmask_b32_e32 v21, v5, v4, vcc_lo
	v_mul_f64_e32 v[4:5], s[8:9], v[6:7]
	ds_load_2addr_b32 v[6:7], v13 offset0:122 offset1:185
	v_or_b32_e32 v22, 0x1000, v2
	v_med3_i32 v23, v12, 0, 13
	v_add_co_u32 v12, vcc_lo, v0, s4
	s_wait_alu 0xfffd
	v_add_co_ci_u32_e32 v13, vcc_lo, s5, v1, vcc_lo
	s_delay_alu instid0(VALU_DEP_3)
	v_lshrrev_b32_e32 v20, v23, v22
	v_and_b32_e32 v24, 7, v21
	global_store_b32 v[0:1], v16, off
	global_store_b32 v[12:13], v17, off
	v_lshrrev_b32_e32 v17, 2, v21
	v_lshl_or_b32 v16, v18, 16, v19
	v_lshlrev_b32_e32 v0, v23, v20
	v_cmp_lt_i32_e32 vcc_lo, 5, v24
	v_cmp_eq_u32_e64 s0, 3, v24
	v_add_nc_u32_e32 v15, 0xfffffc10, v15
	s_delay_alu instid0(VALU_DEP_4) | instskip(SKIP_1) | instid1(VALU_DEP_4)
	v_cmp_ne_u32_e64 s1, v0, v22
	v_lshrrev_b32_e32 v22, 16, v82
	s_or_b32 vcc_lo, s0, vcc_lo
	v_mul_f64_e32 v[0:1], s[8:9], v[10:11]
	s_wait_alu 0xfffe
	v_add_co_ci_u32_e32 v11, vcc_lo, 0, v17, vcc_lo
	v_cndmask_b32_e64 v18, 0, 1, s1
	s_wait_dscnt 0x0
	v_lshrrev_b32_e32 v10, 16, v6
	v_cmp_ne_u32_e32 vcc_lo, 0, v8
	s_delay_alu instid0(VALU_DEP_3) | instskip(SKIP_1) | instid1(VALU_DEP_4)
	v_or_b32_e32 v17, v20, v18
	v_lshl_or_b32 v18, v15, 12, v2
	v_mul_f16_e32 v19, v22, v10
	s_wait_alu 0xfffd
	v_cndmask_b32_e64 v8, 0, 1, vcc_lo
	v_cmp_gt_i32_e32 vcc_lo, 1, v15
	s_delay_alu instid0(VALU_DEP_3) | instskip(NEXT) | instid1(VALU_DEP_3)
	v_fmac_f16_e32 v19, v82, v6
	v_lshl_or_b32 v8, v8, 9, 0x7c00
	s_wait_alu 0xfffd
	v_cndmask_b32_e32 v17, v18, v17, vcc_lo
	v_cmp_gt_i32_e32 vcc_lo, 31, v14
	v_and_or_b32 v4, 0x1ff, v5, v4
	v_cvt_f32_f16_e32 v19, v19
	v_bfe_u32 v20, v5, 20, 11
	s_wait_alu 0xfffd
	v_dual_cndmask_b32 v11, 0x7c00, v11 :: v_dual_and_b32 v18, 7, v17
	v_cmp_eq_u32_e32 vcc_lo, 0x40f, v14
	v_lshrrev_b32_e32 v14, 16, v9
	v_cmp_ne_u32_e64 s0, 0, v4
	v_mul_f16_e32 v6, v22, v6
	s_wait_alu 0xfffd
	v_cndmask_b32_e32 v11, v11, v8, vcc_lo
	v_cvt_f64_f32_e32 v[8:9], v19
	v_cmp_lt_i32_e32 vcc_lo, 5, v18
	s_wait_alu 0xf1ff
	v_cndmask_b32_e64 v4, 0, 1, s0
	v_cmp_eq_u32_e64 s0, 3, v18
	v_and_or_b32 v18, 0x8000, v14, v11
	v_lshrrev_b32_e32 v11, 2, v17
	v_lshrrev_b32_e32 v19, 8, v5
	v_sub_nc_u32_e32 v14, 0x3f1, v20
	s_or_b32 vcc_lo, s0, vcc_lo
	v_and_or_b32 v0, 0x1ff, v1, v0
	s_wait_alu 0xfffe
	v_add_co_ci_u32_e32 v11, vcc_lo, 0, v11, vcc_lo
	v_and_or_b32 v4, 0xffe, v19, v4
	v_cmp_gt_i32_e32 vcc_lo, 31, v15
	v_med3_i32 v14, v14, 0, 13
	v_bfe_u32 v22, v1, 20, 11
	v_fma_f16 v6, v82, v10, -v6
	v_or_b32_e32 v17, 0x1000, v4
	s_wait_alu 0xfffd
	v_cndmask_b32_e32 v19, 0x7c00, v11, vcc_lo
	v_cmp_ne_u32_e32 vcc_lo, 0, v2
	v_lshrrev_b32_e32 v11, 8, v1
	v_sub_nc_u32_e32 v10, 0x3f1, v22
	v_lshrrev_b32_e32 v21, v14, v17
	v_cvt_f32_f16_e32 v6, v6
	s_wait_alu 0xfffd
	v_cndmask_b32_e64 v2, 0, 1, vcc_lo
	v_cmp_ne_u32_e32 vcc_lo, 0, v0
	v_med3_i32 v23, v10, 0, 13
	v_lshlrev_b32_e32 v14, v14, v21
	v_lshrrev_b32_e32 v5, 16, v5
	v_lshl_or_b32 v2, v2, 9, 0x7c00
	s_wait_alu 0xfffd
	v_cndmask_b32_e64 v0, 0, 1, vcc_lo
	v_cmp_ne_u32_e32 vcc_lo, v14, v17
	v_add_nc_u32_e32 v17, 0xfffffc10, v20
	s_delay_alu instid0(VALU_DEP_3)
	v_and_or_b32 v0, 0xffe, v11, v0
	v_cvt_f64_f32_e32 v[10:11], v6
	s_wait_alu 0xfffd
	v_cndmask_b32_e64 v14, 0, 1, vcc_lo
	v_mul_f64_e32 v[8:9], s[8:9], v[8:9]
	v_cmp_eq_u32_e32 vcc_lo, 0x40f, v15
	v_or_b32_e32 v20, 0x1000, v0
	s_wait_alu 0xfffd
	v_dual_cndmask_b32 v19, v19, v2 :: v_dual_add_nc_u32 v6, 0xe00, v72
	v_or_b32_e32 v2, v21, v14
	v_lshl_or_b32 v21, v17, 12, v4
	v_lshrrev_b32_e32 v24, v23, v20
	v_cmp_gt_i32_e32 vcc_lo, 1, v17
	ds_load_2addr_b32 v[14:15], v6 offset0:112 offset1:175
	v_lshrrev_b32_e32 v6, 16, v3
	v_lshlrev_b32_e32 v23, v23, v24
	s_wait_alu 0xfffd
	v_cndmask_b32_e32 v21, v21, v2, vcc_lo
	v_add_co_u32 v2, vcc_lo, v12, s2
	s_wait_alu 0xfffd
	v_add_co_ci_u32_e32 v3, vcc_lo, s3, v13, vcc_lo
	s_delay_alu instid0(VALU_DEP_3)
	v_and_b32_e32 v12, 7, v21
	v_cmp_ne_u32_e32 vcc_lo, v23, v20
	v_and_b32_e32 v13, 0xffff, v18
	v_and_or_b32 v6, 0x8000, v6, v19
	v_add_nc_u32_e32 v19, 0xfffffc10, v22
	v_cmp_eq_u32_e64 s0, 3, v12
	s_wait_alu 0xfffd
	v_cndmask_b32_e64 v18, 0, 1, vcc_lo
	v_cmp_lt_i32_e32 vcc_lo, 5, v12
	v_lshrrev_b32_e32 v12, 2, v21
	v_lshl_or_b32 v20, v19, 12, v0
	s_delay_alu instid0(VALU_DEP_4)
	v_or_b32_e32 v18, v24, v18
	s_or_b32 vcc_lo, s0, vcc_lo
	s_wait_dscnt 0x0
	v_lshrrev_b32_e32 v21, 16, v14
	s_wait_alu 0xfffe
	v_add_co_ci_u32_e32 v12, vcc_lo, 0, v12, vcc_lo
	v_cmp_gt_i32_e32 vcc_lo, 1, v19
	v_mul_f64_e32 v[10:11], s[8:9], v[10:11]
	v_and_or_b32 v8, 0x1ff, v9, v8
	v_bfe_u32 v24, v9, 20, 11
	s_wait_alu 0xfffd
	v_cndmask_b32_e32 v18, v20, v18, vcc_lo
	v_cmp_gt_i32_e32 vcc_lo, 31, v17
	v_cmp_ne_u32_e64 s0, 0, v8
	v_mul_f16_e32 v20, v25, v21
	s_wait_alu 0xfffd
	v_dual_cndmask_b32 v22, 0x7c00, v12 :: v_dual_and_b32 v23, 7, v18
	v_cmp_ne_u32_e32 vcc_lo, 0, v4
	s_wait_alu 0xf1ff
	v_cndmask_b32_e64 v8, 0, 1, s0
	v_lshrrev_b32_e32 v18, 2, v18
	v_cmp_eq_u32_e64 s0, 3, v23
	v_fmac_f16_e32 v20, v81, v14
	s_wait_alu 0xfffd
	v_cndmask_b32_e64 v4, 0, 1, vcc_lo
	v_cmp_lt_i32_e32 vcc_lo, 5, v23
	v_mul_f16_e32 v14, v25, v14
	v_cvt_f32_f16_e32 v12, v20
	s_delay_alu instid0(VALU_DEP_4)
	v_lshl_or_b32 v4, v4, 9, 0x7c00
	s_or_b32 vcc_lo, s0, vcc_lo
	v_lshrrev_b32_e32 v20, 8, v9
	s_wait_alu 0xfffe
	v_add_co_ci_u32_e32 v18, vcc_lo, 0, v18, vcc_lo
	v_cmp_ne_u32_e32 vcc_lo, 0, v0
	v_lshrrev_b32_e32 v9, 16, v9
	v_and_or_b32 v8, 0xffe, v20, v8
	v_sub_nc_u32_e32 v20, 0x3f1, v24
	s_wait_alu 0xfffd
	v_cndmask_b32_e64 v0, 0, 1, vcc_lo
	v_cmp_gt_i32_e32 vcc_lo, 31, v19
	v_or_b32_e32 v23, 0x1000, v8
	v_med3_i32 v20, v20, 0, 13
	s_delay_alu instid0(VALU_DEP_4)
	v_lshl_or_b32 v0, v0, 9, 0x7c00
	s_wait_alu 0xfffd
	v_cndmask_b32_e32 v18, 0x7c00, v18, vcc_lo
	v_cmp_eq_u32_e32 vcc_lo, 0x40f, v17
	v_lshrrev_b32_e32 v17, v20, v23
	s_wait_alu 0xfffd
	v_cndmask_b32_e32 v4, v22, v4, vcc_lo
	v_cmp_eq_u32_e32 vcc_lo, 0x40f, v19
	s_delay_alu instid0(VALU_DEP_3) | instskip(SKIP_1) | instid1(VALU_DEP_4)
	v_lshlrev_b32_e32 v20, v20, v17
	v_lshrrev_b32_e32 v19, 16, v1
	v_and_or_b32 v22, 0x8000, v5, v4
	s_wait_alu 0xfffd
	v_cndmask_b32_e32 v18, v18, v0, vcc_lo
	v_lshl_or_b32 v6, v6, 16, v13
	v_cvt_f64_f32_e32 v[12:13], v12
	v_add_co_u32 v0, vcc_lo, v2, s4
	s_wait_alu 0xfffd
	v_add_co_ci_u32_e32 v1, vcc_lo, s5, v3, vcc_lo
	v_cmp_ne_u32_e32 vcc_lo, v20, v23
	v_and_or_b32 v4, 0x1ff, v11, v10
	v_and_or_b32 v18, 0x8000, v19, v18
	global_store_b32 v[2:3], v16, off
	global_store_b32 v[0:1], v6, off
	v_and_b32_e32 v22, 0xffff, v22
	s_wait_alu 0xfffd
	v_cndmask_b32_e64 v10, 0, 1, vcc_lo
	v_cmp_ne_u32_e32 vcc_lo, 0, v4
	v_add_co_u32 v0, s1, v0, s2
	v_lshl_or_b32 v16, v18, 16, v22
	s_delay_alu instid0(VALU_DEP_4)
	v_or_b32_e32 v10, v17, v10
	v_add_nc_u32_e32 v19, 0xfffffc10, v24
	s_wait_alu 0xfffd
	v_cndmask_b32_e64 v20, 0, 1, vcc_lo
	v_lshrrev_b32_e32 v24, 16, v79
	s_wait_alu 0xf1ff
	v_add_co_ci_u32_e64 v1, s1, s3, v1, s1
	v_lshl_or_b32 v17, v19, 12, v8
	v_cmp_gt_i32_e32 vcc_lo, 1, v19
	global_store_b32 v[0:1], v16, off
	v_lshrrev_b32_e32 v16, 16, v15
	v_add_co_u32 v0, s1, v0, s4
	s_wait_alu 0xfffd
	v_cndmask_b32_e32 v10, v17, v10, vcc_lo
	s_wait_alu 0xf1ff
	v_add_co_ci_u32_e64 v1, s1, s5, v1, s1
	s_delay_alu instid0(VALU_DEP_2)
	v_and_b32_e32 v23, 7, v10
	v_lshrrev_b32_e32 v3, 2, v10
	v_mul_f64_e32 v[4:5], s[8:9], v[12:13]
	v_fma_f16 v12, v81, v21, -v14
	v_lshrrev_b32_e32 v13, 8, v11
	v_bfe_u32 v14, v11, 20, 11
	v_cmp_lt_i32_e32 vcc_lo, 5, v23
	v_cmp_eq_u32_e64 s0, 3, v23
	v_cvt_f32_f16_e32 v12, v12
	v_and_or_b32 v20, 0xffe, v13, v20
	v_sub_nc_u32_e32 v21, 0x3f1, v14
	v_add_nc_u32_e32 v10, 0xfffffc10, v14
	s_or_b32 vcc_lo, s0, vcc_lo
	v_cvt_f64_f32_e32 v[12:13], v12
	v_or_b32_e32 v17, 0x1000, v20
	v_med3_i32 v21, v21, 0, 13
	s_wait_alu 0xfffe
	v_add_co_ci_u32_e32 v3, vcc_lo, 0, v3, vcc_lo
	v_lshrrev_b32_e32 v14, 16, v7
	v_lshrrev_b32_e32 v11, 16, v11
	;; [unrolled: 1-line block ×3, first 2 shown]
	s_delay_alu instid0(VALU_DEP_1) | instskip(NEXT) | instid1(VALU_DEP_1)
	v_lshlrev_b32_e32 v6, v21, v2
	v_cmp_ne_u32_e32 vcc_lo, v6, v17
	s_wait_alu 0xfffd
	v_cndmask_b32_e64 v6, 0, 1, vcc_lo
	v_cmp_gt_i32_e32 vcc_lo, 31, v19
	s_delay_alu instid0(VALU_DEP_2)
	v_or_b32_e32 v2, v2, v6
	s_wait_alu 0xfffd
	v_cndmask_b32_e32 v17, 0x7c00, v3, vcc_lo
	v_cmp_ne_u32_e32 vcc_lo, 0, v8
	v_mul_f16_e32 v6, v24, v14
	v_lshl_or_b32 v3, v10, 12, v20
	v_and_or_b32 v4, 0x1ff, v5, v4
	v_lshrrev_b32_e32 v21, 8, v5
	s_wait_alu 0xfffd
	v_cndmask_b32_e64 v8, 0, 1, vcc_lo
	v_cmp_gt_i32_e32 vcc_lo, 1, v10
	v_fmac_f16_e32 v6, v79, v7
	v_bfe_u32 v22, v5, 20, 11
	v_mul_f16_e32 v7, v24, v7
	v_lshl_or_b32 v8, v8, 9, 0x7c00
	s_wait_alu 0xfffd
	v_cndmask_b32_e32 v18, v3, v2, vcc_lo
	v_cmp_ne_u32_e32 vcc_lo, 0, v4
	v_mul_f64_e32 v[2:3], s[8:9], v[12:13]
	v_cvt_f32_f16_e32 v6, v6
	v_fma_f16 v7, v79, v14, -v7
	v_and_b32_e32 v23, 7, v18
	s_wait_alu 0xfffd
	v_cndmask_b32_e64 v4, 0, 1, vcc_lo
	v_cmp_eq_u32_e32 vcc_lo, 0x40f, v19
	v_cvt_f64_f32_e32 v[12:13], v6
	v_lshrrev_b32_e32 v18, 2, v18
	v_cmp_eq_u32_e64 s0, 3, v23
	v_and_or_b32 v4, 0xffe, v21, v4
	v_sub_nc_u32_e32 v21, 0x3f1, v22
	s_wait_alu 0xfffd
	v_cndmask_b32_e32 v8, v17, v8, vcc_lo
	v_cmp_lt_i32_e32 vcc_lo, 5, v23
	v_cvt_f32_f16_e32 v7, v7
	v_or_b32_e32 v6, 0x1000, v4
	v_med3_i32 v17, v21, 0, 13
	v_lshrrev_b32_e32 v21, 16, v77
	s_or_b32 vcc_lo, s0, vcc_lo
	v_lshrrev_b32_e32 v24, 16, v75
	s_wait_alu 0xfffe
	v_add_co_ci_u32_e32 v14, vcc_lo, 0, v18, vcc_lo
	v_lshrrev_b32_e32 v19, v17, v6
	v_cmp_ne_u32_e32 vcc_lo, 0, v20
	v_add_nc_u32_e32 v20, 0xfffffc10, v22
	v_add_nc_u32_e32 v22, 0x600, v72
	s_delay_alu instid0(VALU_DEP_4) | instskip(SKIP_3) | instid1(VALU_DEP_2)
	v_lshlrev_b32_e32 v17, v17, v19
	s_wait_alu 0xfffd
	v_cndmask_b32_e64 v18, 0, 1, vcc_lo
	v_cmp_gt_i32_e32 vcc_lo, 31, v10
	v_lshl_or_b32 v18, v18, 9, 0x7c00
	s_wait_alu 0xfffd
	v_cndmask_b32_e32 v14, 0x7c00, v14, vcc_lo
	v_cmp_ne_u32_e32 vcc_lo, v17, v6
	v_cvt_f64_f32_e32 v[6:7], v7
	v_and_or_b32 v2, 0x1ff, v3, v2
	s_wait_alu 0xfffd
	v_cndmask_b32_e64 v17, 0, 1, vcc_lo
	v_cmp_eq_u32_e32 vcc_lo, 0x40f, v10
	s_wait_alu 0xfffd
	v_cndmask_b32_e32 v10, v14, v18, vcc_lo
	s_delay_alu instid0(VALU_DEP_3)
	v_or_b32_e32 v14, v19, v17
	v_lshl_or_b32 v17, v20, 12, v4
	v_cmp_gt_i32_e32 vcc_lo, 1, v20
	v_and_or_b32 v18, 0x8000, v9, v8
	v_and_or_b32 v10, 0x8000, v11, v10
	v_mul_f64_e32 v[8:9], s[8:9], v[12:13]
	v_lshrrev_b32_e32 v12, 8, v3
	s_wait_alu 0xfffd
	v_cndmask_b32_e32 v11, v17, v14, vcc_lo
	v_cmp_ne_u32_e32 vcc_lo, 0, v2
	v_bfe_u32 v13, v3, 20, 11
	v_and_b32_e32 v14, 0xffff, v18
	v_mul_f16_e32 v18, v21, v16
	v_and_b32_e32 v17, 7, v11
	s_wait_alu 0xfffd
	v_cndmask_b32_e64 v2, 0, 1, vcc_lo
	v_lshrrev_b32_e32 v11, 2, v11
	v_lshl_or_b32 v10, v10, 16, v14
	v_fmac_f16_e32 v18, v77, v15
	v_cmp_lt_i32_e32 vcc_lo, 5, v17
	v_and_or_b32 v2, 0xffe, v12, v2
	v_sub_nc_u32_e32 v12, 0x3f1, v13
	v_cmp_eq_u32_e64 s0, 3, v17
	global_store_b32 v[0:1], v10, off
	v_or_b32_e32 v14, 0x1000, v2
	v_med3_i32 v12, v12, 0, 13
	s_or_b32 vcc_lo, s0, vcc_lo
	s_wait_alu 0xfffe
	v_add_co_ci_u32_e32 v11, vcc_lo, 0, v11, vcc_lo
	s_delay_alu instid0(VALU_DEP_2) | instskip(SKIP_3) | instid1(VALU_DEP_3)
	v_lshrrev_b32_e32 v17, v12, v14
	v_cmp_gt_i32_e32 vcc_lo, 31, v20
	v_mul_f64_e32 v[6:7], s[8:9], v[6:7]
	s_wait_alu 0xfffd
	v_dual_cndmask_b32 v19, 0x7c00, v11 :: v_dual_lshlrev_b32 v12, v12, v17
	v_cvt_f32_f16_e32 v11, v18
	s_delay_alu instid0(VALU_DEP_2)
	v_cmp_ne_u32_e32 vcc_lo, v12, v14
	v_add_nc_u32_e32 v12, 0xfffffc10, v13
	v_and_or_b32 v8, 0x1ff, v9, v8
	s_wait_alu 0xfffd
	v_cndmask_b32_e64 v10, 0, 1, vcc_lo
	v_cmp_ne_u32_e32 vcc_lo, 0, v4
	v_lshl_or_b32 v14, v12, 12, v2
	s_delay_alu instid0(VALU_DEP_3)
	v_or_b32_e32 v13, v17, v10
	s_wait_alu 0xfffd
	v_cndmask_b32_e64 v4, 0, 1, vcc_lo
	v_cmp_gt_i32_e32 vcc_lo, 1, v12
	v_cvt_f64_f32_e32 v[10:11], v11
	v_bfe_u32 v17, v9, 20, 11
	s_delay_alu instid0(VALU_DEP_4)
	v_lshl_or_b32 v4, v4, 9, 0x7c00
	s_wait_alu 0xfffd
	v_cndmask_b32_e32 v13, v14, v13, vcc_lo
	v_cmp_ne_u32_e32 vcc_lo, 0, v8
	v_lshrrev_b32_e32 v14, 8, v9
	v_lshrrev_b32_e32 v9, 16, v9
	s_delay_alu instid0(VALU_DEP_4)
	v_and_b32_e32 v18, 7, v13
	s_wait_alu 0xfffd
	v_cndmask_b32_e64 v8, 0, 1, vcc_lo
	v_cmp_eq_u32_e32 vcc_lo, 0x40f, v20
	v_lshrrev_b32_e32 v13, 2, v13
	v_cmp_eq_u32_e64 s0, 3, v18
	s_delay_alu instid0(VALU_DEP_4)
	v_and_or_b32 v8, 0xffe, v14, v8
	s_wait_alu 0xfffd
	v_cndmask_b32_e32 v19, v19, v4, vcc_lo
	v_sub_nc_u32_e32 v4, 0x3f1, v17
	v_add_nc_u32_e32 v17, 0xfffffc10, v17
	v_cmp_lt_i32_e32 vcc_lo, 5, v18
	v_or_b32_e32 v14, 0x1000, v8
	v_lshrrev_b32_e32 v18, 16, v5
	v_med3_i32 v4, v4, 0, 13
	v_and_or_b32 v5, 0x1ff, v7, v6
	s_or_b32 vcc_lo, s0, vcc_lo
	v_mul_f16_e32 v6, v21, v15
	s_wait_alu 0xfffe
	v_add_co_ci_u32_e32 v13, vcc_lo, 0, v13, vcc_lo
	v_lshrrev_b32_e32 v20, v4, v14
	v_cmp_ne_u32_e32 vcc_lo, 0, v2
	v_fma_f16 v6, v77, v16, -v6
	v_lshrrev_b32_e32 v15, 8, v7
	v_bfe_u32 v16, v7, 20, 11
	v_lshlrev_b32_e32 v4, v4, v20
	s_wait_alu 0xfffd
	v_cndmask_b32_e64 v2, 0, 1, vcc_lo
	v_cmp_ne_u32_e32 vcc_lo, 0, v5
	v_cvt_f32_f16_e32 v6, v6
	v_sub_nc_u32_e32 v21, 0x3f1, v16
	v_and_or_b32 v18, 0x8000, v18, v19
	v_lshl_or_b32 v2, v2, 9, 0x7c00
	s_wait_alu 0xfffd
	v_cndmask_b32_e64 v5, 0, 1, vcc_lo
	v_cmp_ne_u32_e32 vcc_lo, v4, v14
	v_med3_i32 v21, v21, 0, 13
	v_add_nc_u32_e32 v16, 0xfffffc10, v16
	v_and_b32_e32 v18, 0xffff, v18
	v_and_or_b32 v15, 0xffe, v15, v5
	s_wait_alu 0xfffd
	v_cndmask_b32_e64 v14, 0, 1, vcc_lo
	v_cmp_gt_i32_e32 vcc_lo, 31, v12
	v_mul_f64_e32 v[4:5], s[8:9], v[10:11]
	v_cvt_f64_f32_e32 v[10:11], v6
	s_delay_alu instid0(VALU_DEP_4)
	v_or_b32_e32 v6, v20, v14
	v_lshl_or_b32 v14, v17, 12, v8
	v_or_b32_e32 v20, 0x1000, v15
	s_wait_alu 0xfffd
	v_cndmask_b32_e32 v13, 0x7c00, v13, vcc_lo
	v_cmp_gt_i32_e32 vcc_lo, 1, v17
	s_wait_alu 0xfffd
	v_cndmask_b32_e32 v6, v14, v6, vcc_lo
	v_lshrrev_b32_e32 v14, v21, v20
	v_cmp_eq_u32_e32 vcc_lo, 0x40f, v12
	s_delay_alu instid0(VALU_DEP_3) | instskip(NEXT) | instid1(VALU_DEP_3)
	v_and_b32_e32 v23, 7, v6
	v_lshlrev_b32_e32 v21, v21, v14
	s_wait_alu 0xfffd
	v_cndmask_b32_e32 v12, v13, v2, vcc_lo
	v_lshrrev_b32_e32 v13, 16, v3
	ds_load_2addr_b32 v[2:3], v22 offset0:120 offset1:183
	v_cmp_lt_i32_e32 vcc_lo, 5, v23
	v_cmp_ne_u32_e64 s0, v21, v20
	v_lshrrev_b32_e32 v6, 2, v6
	v_and_or_b32 v19, 0x8000, v13, v12
	v_lshl_or_b32 v13, v16, 12, v15
	s_wait_alu 0xf1ff
	v_cndmask_b32_e64 v12, 0, 1, s0
	v_cmp_eq_u32_e64 s0, 3, v23
	v_lshl_or_b32 v18, v19, 16, v18
	s_delay_alu instid0(VALU_DEP_3) | instskip(NEXT) | instid1(VALU_DEP_3)
	v_or_b32_e32 v12, v14, v12
	s_or_b32 vcc_lo, s0, vcc_lo
	s_wait_alu 0xfffe
	v_add_co_ci_u32_e32 v6, vcc_lo, 0, v6, vcc_lo
	v_cmp_ne_u32_e32 vcc_lo, 0, v8
	v_and_or_b32 v4, 0x1ff, v5, v4
	v_mul_f64_e32 v[10:11], s[8:9], v[10:11]
	s_wait_dscnt 0x0
	v_lshrrev_b32_e32 v14, 16, v2
	v_lshrrev_b32_e32 v21, 8, v5
	s_wait_alu 0xfffd
	v_cndmask_b32_e64 v8, 0, 1, vcc_lo
	v_cmp_gt_i32_e32 vcc_lo, 1, v16
	v_bfe_u32 v22, v5, 20, 11
	v_lshrrev_b32_e32 v5, 16, v5
	s_delay_alu instid0(VALU_DEP_4) | instskip(SKIP_4) | instid1(VALU_DEP_3)
	v_lshl_or_b32 v8, v8, 9, 0x7c00
	s_wait_alu 0xfffd
	v_cndmask_b32_e32 v12, v13, v12, vcc_lo
	v_cmp_gt_i32_e32 vcc_lo, 31, v17
	v_mul_f16_e32 v13, v24, v14
	v_and_b32_e32 v20, 7, v12
	s_wait_alu 0xfffd
	v_cndmask_b32_e32 v6, 0x7c00, v6, vcc_lo
	v_cmp_ne_u32_e32 vcc_lo, 0, v4
	v_fmac_f16_e32 v13, v75, v2
	v_mul_f16_e32 v2, v24, v2
	v_cmp_eq_u32_e64 s0, 3, v20
	s_wait_alu 0xfffd
	v_cndmask_b32_e64 v4, 0, 1, vcc_lo
	v_cmp_eq_u32_e32 vcc_lo, 0x40f, v17
	v_sub_nc_u32_e32 v17, 0x3f1, v22
	v_fma_f16 v2, v75, v14, -v2
	s_delay_alu instid0(VALU_DEP_4)
	v_and_or_b32 v4, 0xffe, v21, v4
	s_wait_alu 0xfffd
	v_cndmask_b32_e32 v6, v6, v8, vcc_lo
	v_cvt_f32_f16_e32 v8, v13
	v_cmp_lt_i32_e32 vcc_lo, 5, v20
	v_lshrrev_b32_e32 v20, 2, v12
	v_med3_i32 v17, v17, 0, 13
	v_and_or_b32 v23, 0x8000, v9, v6
	v_cvt_f64_f32_e32 v[12:13], v8
	s_or_b32 vcc_lo, s0, vcc_lo
	v_or_b32_e32 v8, 0x1000, v4
	s_wait_alu 0xfffe
	v_add_co_ci_u32_e32 v20, vcc_lo, 0, v20, vcc_lo
	v_cmp_ne_u32_e32 vcc_lo, 0, v15
	v_cvt_f32_f16_e32 v2, v2
	v_lshrrev_b32_e32 v21, v17, v8
	v_lshrrev_b32_e32 v14, 8, v11
	s_wait_alu 0xfffd
	v_cndmask_b32_e64 v15, 0, 1, vcc_lo
	v_cmp_gt_i32_e32 vcc_lo, 31, v16
	v_lshlrev_b32_e32 v6, v17, v21
	v_bfe_u32 v17, v11, 20, 11
	s_delay_alu instid0(VALU_DEP_4)
	v_lshl_or_b32 v15, v15, 9, 0x7c00
	s_wait_alu 0xfffd
	v_cndmask_b32_e32 v20, 0x7c00, v20, vcc_lo
	v_cmp_eq_u32_e32 vcc_lo, 0x40f, v16
	v_lshrrev_b32_e32 v16, 16, v7
	v_and_or_b32 v7, 0x1ff, v11, v10
	s_wait_alu 0xfffd
	v_dual_cndmask_b32 v15, v20, v15 :: v_dual_add_nc_u32 v10, 0xfffffc10, v22
	v_cmp_ne_u32_e32 vcc_lo, v6, v8
	v_add_nc_u32_e32 v20, 0x1000, v72
	s_delay_alu instid0(VALU_DEP_3)
	v_and_or_b32 v15, 0x8000, v16, v15
	s_wait_alu 0xfffd
	v_cndmask_b32_e64 v8, 0, 1, vcc_lo
	v_cmp_ne_u32_e32 vcc_lo, 0, v7
	v_cvt_f64_f32_e32 v[6:7], v2
	v_and_b32_e32 v16, 0xffff, v23
	s_delay_alu instid0(VALU_DEP_4)
	v_or_b32_e32 v2, v21, v8
	s_wait_alu 0xfffd
	v_cndmask_b32_e64 v9, 0, 1, vcc_lo
	v_lshl_or_b32 v21, v10, 12, v4
	v_cmp_gt_i32_e32 vcc_lo, 1, v10
	v_lshl_or_b32 v23, v15, 16, v16
	v_mul_f64_e32 v[12:13], s[8:9], v[12:13]
	v_and_or_b32 v22, 0xffe, v14, v9
	ds_load_2addr_b32 v[8:9], v20 offset0:110 offset1:173
	v_sub_nc_u32_e32 v14, 0x3f1, v17
	s_wait_alu 0xfffd
	v_cndmask_b32_e32 v2, v21, v2, vcc_lo
	v_add_co_u32 v0, vcc_lo, v0, s2
	v_or_b32_e32 v20, 0x1000, v22
	v_med3_i32 v14, v14, 0, 13
	s_delay_alu instid0(VALU_DEP_4)
	v_and_b32_e32 v19, 7, v2
	s_wait_alu 0xfffd
	v_add_co_ci_u32_e32 v1, vcc_lo, s3, v1, vcc_lo
	v_lshrrev_b32_e32 v2, 2, v2
	v_lshrrev_b32_e32 v21, v14, v20
	v_cmp_lt_i32_e32 vcc_lo, 5, v19
	v_cmp_eq_u32_e64 s0, 3, v19
	s_delay_alu instid0(VALU_DEP_3) | instskip(NEXT) | instid1(VALU_DEP_2)
	v_lshlrev_b32_e32 v14, v14, v21
	s_or_b32 vcc_lo, s0, vcc_lo
	s_wait_dscnt 0x0
	v_lshrrev_b32_e32 v19, 16, v8
	s_delay_alu instid0(VALU_DEP_2)
	v_cmp_ne_u32_e64 s1, v14, v20
	s_wait_alu 0xfffe
	v_add_co_ci_u32_e32 v2, vcc_lo, 0, v2, vcc_lo
	v_add_nc_u32_e32 v20, 0xfffffc10, v17
	v_mul_f16_e32 v15, v26, v19
	s_wait_alu 0xf1ff
	v_cndmask_b32_e64 v14, 0, 1, s1
	v_cmp_ne_u32_e32 vcc_lo, 0, v4
	v_mul_f64_e32 v[6:7], s[8:9], v[6:7]
	v_lshl_or_b32 v16, v20, 12, v22
	v_fmac_f16_e32 v15, v74, v8
	v_or_b32_e32 v14, v21, v14
	s_wait_alu 0xfffd
	v_cndmask_b32_e64 v4, 0, 1, vcc_lo
	v_cmp_gt_i32_e32 vcc_lo, 1, v20
	v_mul_f16_e32 v8, v26, v8
	v_and_or_b32 v12, 0x1ff, v13, v12
	s_delay_alu instid0(VALU_DEP_4)
	v_lshl_or_b32 v4, v4, 9, 0x7c00
	s_wait_alu 0xfffd
	v_cndmask_b32_e32 v21, v16, v14, vcc_lo
	v_cvt_f32_f16_e32 v14, v15
	v_cmp_gt_i32_e32 vcc_lo, 31, v10
	v_cmp_ne_u32_e64 s0, 0, v12
	v_bfe_u32 v12, v13, 20, 11
	v_and_b32_e32 v24, 7, v21
	v_cvt_f64_f32_e32 v[14:15], v14
	s_wait_alu 0xfffd
	v_cndmask_b32_e32 v2, 0x7c00, v2, vcc_lo
	v_add_co_u32 v16, vcc_lo, v0, s4
	s_wait_alu 0xfffd
	v_add_co_ci_u32_e32 v17, vcc_lo, s5, v1, vcc_lo
	v_cmp_eq_u32_e32 vcc_lo, 0x40f, v10
	v_lshrrev_b32_e32 v10, 8, v13
	v_lshrrev_b32_e32 v21, 2, v21
	v_fma_f16 v8, v74, v19, -v8
	global_store_b32 v[0:1], v18, off
	global_store_b32 v[16:17], v23, off
	s_wait_alu 0xfffd
	v_cndmask_b32_e32 v2, v2, v4, vcc_lo
	v_cmp_lt_i32_e32 vcc_lo, 5, v24
	s_wait_alu 0xf1ff
	v_cndmask_b32_e64 v4, 0, 1, s0
	v_cmp_eq_u32_e64 s0, 3, v24
	v_cvt_f32_f16_e32 v8, v8
	v_and_or_b32 v2, 0x8000, v5, v2
	v_lshrrev_b32_e32 v13, 16, v13
	v_and_or_b32 v24, 0xffe, v10, v4
	s_or_b32 vcc_lo, s0, vcc_lo
	v_sub_nc_u32_e32 v4, 0x3f1, v12
	s_wait_alu 0xfffe
	v_add_co_ci_u32_e32 v10, vcc_lo, 0, v21, vcc_lo
	v_cmp_ne_u32_e32 vcc_lo, 0, v22
	v_or_b32_e32 v22, 0x1000, v24
	v_med3_i32 v4, v4, 0, 13
	v_and_or_b32 v5, 0x1ff, v7, v6
	v_bfe_u32 v26, v7, 20, 11
	s_wait_alu 0xfffd
	v_cndmask_b32_e64 v21, 0, 1, vcc_lo
	v_cmp_gt_i32_e32 vcc_lo, 31, v20
	v_lshrrev_b32_e32 v25, v4, v22
	v_add_nc_u32_e32 v12, 0xfffffc10, v12
	v_and_b32_e32 v2, 0xffff, v2
	v_lshl_or_b32 v21, v21, 9, 0x7c00
	s_wait_alu 0xfffd
	v_cndmask_b32_e32 v10, 0x7c00, v10, vcc_lo
	v_cmp_eq_u32_e32 vcc_lo, 0x40f, v20
	v_lshrrev_b32_e32 v20, 16, v11
	v_cmp_eq_u32_e64 s1, 0x40f, v12
	s_wait_alu 0xfffd
	v_cndmask_b32_e32 v6, v10, v21, vcc_lo
	v_lshlrev_b32_e32 v10, v4, v25
	v_cmp_ne_u32_e32 vcc_lo, 0, v5
	v_lshrrev_b32_e32 v21, 8, v7
	v_mul_f64_e32 v[4:5], s[8:9], v[14:15]
	v_sub_nc_u32_e32 v14, 0x3f1, v26
	v_and_or_b32 v6, 0x8000, v20, v6
	s_wait_alu 0xfffd
	v_cndmask_b32_e64 v11, 0, 1, vcc_lo
	v_cmp_ne_u32_e32 vcc_lo, v10, v22
	v_lshrrev_b32_e32 v7, 16, v7
	v_lshl_or_b32 v18, v6, 16, v2
	s_delay_alu instid0(VALU_DEP_4)
	v_and_or_b32 v19, 0xffe, v21, v11
	s_wait_alu 0xfffd
	v_cndmask_b32_e64 v10, 0, 1, vcc_lo
	v_lshl_or_b32 v21, v12, 12, v24
	v_cmp_gt_i32_e32 vcc_lo, 1, v12
	v_or_b32_e32 v22, 0x1000, v19
	s_delay_alu instid0(VALU_DEP_4)
	v_or_b32_e32 v15, v25, v10
	v_cvt_f64_f32_e32 v[10:11], v8
	v_med3_i32 v8, v14, 0, 13
	v_lshrrev_b32_e32 v25, 16, v73
	s_wait_alu 0xfffd
	v_cndmask_b32_e32 v14, v21, v15, vcc_lo
	v_add_co_u32 v0, vcc_lo, v16, s2
	v_lshrrev_b32_e32 v15, v8, v22
	s_wait_alu 0xfffd
	v_add_co_ci_u32_e32 v1, vcc_lo, s3, v17, vcc_lo
	v_and_b32_e32 v2, 7, v14
	v_add_nc_u32_e32 v16, 0xfffffc10, v26
	v_lshlrev_b32_e32 v6, v8, v15
	v_lshrrev_b32_e32 v8, 16, v3
	s_delay_alu instid0(VALU_DEP_4) | instskip(NEXT) | instid1(VALU_DEP_3)
	v_cmp_lt_i32_e32 vcc_lo, 5, v2
	v_cmp_ne_u32_e64 s0, v6, v22
	s_delay_alu instid0(VALU_DEP_3) | instskip(SKIP_1) | instid1(VALU_DEP_2)
	v_mul_f16_e32 v17, v25, v8
	s_wait_alu 0xf1ff
	v_cndmask_b32_e64 v6, 0, 1, s0
	v_cmp_eq_u32_e64 s0, 3, v2
	v_lshrrev_b32_e32 v2, 2, v14
	v_fmac_f16_e32 v17, v73, v3
	v_lshl_or_b32 v14, v16, 12, v19
	v_or_b32_e32 v6, v15, v6
	s_or_b32 vcc_lo, s0, vcc_lo
	v_and_or_b32 v4, 0x1ff, v5, v4
	s_wait_alu 0xfffe
	v_add_co_ci_u32_e32 v2, vcc_lo, 0, v2, vcc_lo
	v_cmp_gt_i32_e32 vcc_lo, 1, v16
	v_cvt_f32_f16_e32 v15, v17
	v_lshrrev_b32_e32 v17, 8, v5
	v_bfe_u32 v20, v5, 20, 11
	s_wait_alu 0xfffd
	v_cndmask_b32_e32 v6, v14, v6, vcc_lo
	v_cmp_ne_u32_e32 vcc_lo, 0, v4
	v_cvt_f64_f32_e32 v[14:15], v15
	v_mul_f64_e32 v[10:11], s[8:9], v[10:11]
	s_delay_alu instid0(VALU_DEP_4)
	v_and_b32_e32 v22, 7, v6
	s_wait_alu 0xfffd
	v_cndmask_b32_e64 v4, 0, 1, vcc_lo
	v_cmp_ne_u32_e32 vcc_lo, 0, v24
	v_lshrrev_b32_e32 v6, 2, v6
	v_cmp_eq_u32_e64 s0, 3, v22
	s_delay_alu instid0(VALU_DEP_4)
	v_and_or_b32 v4, 0xffe, v17, v4
	s_wait_alu 0xfffd
	v_cndmask_b32_e64 v21, 0, 1, vcc_lo
	v_cmp_gt_i32_e32 vcc_lo, 31, v12
	v_sub_nc_u32_e32 v17, 0x3f1, v20
	v_add_nc_u32_e32 v20, 0xfffffc10, v20
	v_or_b32_e32 v23, 0x1000, v4
	v_lshl_or_b32 v21, v21, 9, 0x7c00
	s_wait_alu 0xfffd
	v_cndmask_b32_e32 v2, 0x7c00, v2, vcc_lo
	v_cmp_lt_i32_e32 vcc_lo, 5, v22
	v_med3_i32 v17, v17, 0, 13
	v_lshrrev_b32_e32 v22, 16, v71
	s_delay_alu instid0(VALU_DEP_4) | instskip(SKIP_1) | instid1(VALU_DEP_3)
	v_cndmask_b32_e64 v2, v2, v21, s1
	s_or_b32 vcc_lo, s0, vcc_lo
	v_lshrrev_b32_e32 v12, v17, v23
	s_wait_alu 0xfffe
	v_add_co_ci_u32_e32 v6, vcc_lo, 0, v6, vcc_lo
	v_cmp_ne_u32_e32 vcc_lo, 0, v19
	v_and_or_b32 v13, 0x8000, v13, v2
	v_lshlrev_b32_e32 v17, v17, v12
	s_wait_alu 0xfffd
	v_cndmask_b32_e64 v19, 0, 1, vcc_lo
	v_cmp_gt_i32_e32 vcc_lo, 31, v16
	v_and_b32_e32 v13, 0xffff, v13
	s_delay_alu instid0(VALU_DEP_3)
	v_lshl_or_b32 v19, v19, 9, 0x7c00
	s_wait_alu 0xfffd
	v_cndmask_b32_e32 v6, 0x7c00, v6, vcc_lo
	v_cmp_ne_u32_e32 vcc_lo, v17, v23
	v_and_or_b32 v10, 0x1ff, v11, v10
	s_wait_alu 0xfffd
	v_cndmask_b32_e64 v17, 0, 1, vcc_lo
	v_cmp_eq_u32_e32 vcc_lo, 0x40f, v16
	v_mul_f16_e32 v16, v25, v3
	v_mul_f64_e32 v[2:3], s[8:9], v[14:15]
	v_lshl_or_b32 v14, v20, 12, v4
	v_or_b32_e32 v12, v12, v17
	s_wait_alu 0xfffd
	v_cndmask_b32_e32 v6, v6, v19, vcc_lo
	v_fma_f16 v8, v73, v8, -v16
	v_cmp_gt_i32_e32 vcc_lo, 1, v20
	v_bfe_u32 v15, v11, 20, 11
	s_delay_alu instid0(VALU_DEP_4) | instskip(NEXT) | instid1(VALU_DEP_4)
	v_and_or_b32 v16, 0x8000, v7, v6
	v_cvt_f32_f16_e32 v8, v8
	s_wait_alu 0xfffd
	v_cndmask_b32_e32 v12, v14, v12, vcc_lo
	v_cmp_ne_u32_e32 vcc_lo, 0, v10
	v_lshrrev_b32_e32 v14, 8, v11
	v_lshl_or_b32 v16, v16, 16, v13
	v_cvt_f64_f32_e32 v[6:7], v8
	v_and_b32_e32 v17, 7, v12
	s_wait_alu 0xfffd
	v_cndmask_b32_e64 v10, 0, 1, vcc_lo
	v_sub_nc_u32_e32 v8, 0x3f1, v15
	v_lshrrev_b32_e32 v12, 2, v12
	v_add_nc_u32_e32 v15, 0xfffffc10, v15
	v_cmp_lt_i32_e32 vcc_lo, 5, v17
	v_and_or_b32 v10, 0xffe, v14, v10
	v_lshrrev_b32_e32 v14, 16, v9
	v_cmp_eq_u32_e64 s0, 3, v17
	v_med3_i32 v8, v8, 0, 13
	v_lshrrev_b32_e32 v11, 16, v11
	v_or_b32_e32 v19, 0x1000, v10
	v_mul_f16_e32 v21, v22, v14
	s_or_b32 vcc_lo, s0, vcc_lo
	s_wait_alu 0xfffe
	v_add_co_ci_u32_e32 v12, vcc_lo, 0, v12, vcc_lo
	v_lshrrev_b32_e32 v17, v8, v19
	v_fmac_f16_e32 v21, v71, v9
	v_cmp_ne_u32_e32 vcc_lo, 0, v4
	v_mul_f16_e32 v9, v22, v9
	s_delay_alu instid0(VALU_DEP_4) | instskip(NEXT) | instid1(VALU_DEP_4)
	v_lshlrev_b32_e32 v8, v8, v17
	v_cvt_f32_f16_e32 v13, v21
	s_wait_alu 0xfffd
	v_cndmask_b32_e64 v4, 0, 1, vcc_lo
	v_cmp_gt_i32_e32 vcc_lo, 31, v20
	v_and_or_b32 v2, 0x1ff, v3, v2
	v_fma_f16 v9, v71, v14, -v9
	v_lshl_or_b32 v14, v15, 12, v10
	v_lshl_or_b32 v4, v4, 9, 0x7c00
	s_wait_alu 0xfffd
	v_cndmask_b32_e32 v21, 0x7c00, v12, vcc_lo
	v_cvt_f64_f32_e32 v[12:13], v13
	v_cmp_ne_u32_e32 vcc_lo, v8, v19
	v_lshrrev_b32_e32 v19, 8, v3
	v_cvt_f32_f16_e32 v9, v9
	s_wait_alu 0xfffd
	v_cndmask_b32_e64 v8, 0, 1, vcc_lo
	v_cmp_ne_u32_e32 vcc_lo, 0, v2
	v_mul_f64_e32 v[6:7], s[8:9], v[6:7]
	s_delay_alu instid0(VALU_DEP_3)
	v_or_b32_e32 v8, v17, v8
	s_wait_alu 0xfffd
	v_cndmask_b32_e64 v2, 0, 1, vcc_lo
	v_bfe_u32 v17, v3, 20, 11
	v_cmp_gt_i32_e32 vcc_lo, 1, v15
	v_lshrrev_b32_e32 v3, 16, v3
	s_delay_alu instid0(VALU_DEP_4) | instskip(NEXT) | instid1(VALU_DEP_4)
	v_and_or_b32 v2, 0xffe, v19, v2
	v_sub_nc_u32_e32 v19, 0x3f1, v17
	s_wait_alu 0xfffd
	v_cndmask_b32_e32 v14, v14, v8, vcc_lo
	v_cmp_eq_u32_e32 vcc_lo, 0x40f, v20
	v_cvt_f64_f32_e32 v[8:9], v9
	v_or_b32_e32 v22, 0x1000, v2
	v_med3_i32 v19, v19, 0, 13
	s_wait_alu 0xfffd
	v_dual_cndmask_b32 v20, v21, v4 :: v_dual_and_b32 v23, 7, v14
	v_add_co_u32 v4, vcc_lo, v0, s4
	s_delay_alu instid0(VALU_DEP_3)
	v_lshrrev_b32_e32 v24, v19, v22
	v_lshrrev_b32_e32 v21, 16, v5
	s_wait_alu 0xfffd
	v_add_co_ci_u32_e32 v5, vcc_lo, s5, v1, vcc_lo
	v_cmp_lt_i32_e32 vcc_lo, 5, v23
	v_cmp_eq_u32_e64 s0, 3, v23
	v_lshrrev_b32_e32 v14, 2, v14
	v_lshlrev_b32_e32 v19, v19, v24
	v_add_nc_u32_e32 v17, 0xfffffc10, v17
	v_and_or_b32 v20, 0x8000, v21, v20
	s_or_b32 vcc_lo, s0, vcc_lo
	v_mul_f64_e32 v[12:13], s[8:9], v[12:13]
	s_wait_alu 0xfffe
	v_add_co_ci_u32_e32 v14, vcc_lo, 0, v14, vcc_lo
	v_cmp_ne_u32_e64 s1, v19, v22
	v_cmp_ne_u32_e32 vcc_lo, 0, v10
	v_lshl_or_b32 v21, v17, 12, v2
	v_and_or_b32 v6, 0x1ff, v7, v6
	s_wait_alu 0xf1ff
	v_cndmask_b32_e64 v19, 0, 1, s1
	s_wait_alu 0xfffd
	v_cndmask_b32_e64 v10, 0, 1, vcc_lo
	v_cmp_gt_i32_e32 vcc_lo, 31, v15
	s_delay_alu instid0(VALU_DEP_3) | instskip(NEXT) | instid1(VALU_DEP_3)
	v_or_b32_e32 v19, v24, v19
	v_lshl_or_b32 v10, v10, 9, 0x7c00
	s_wait_alu 0xfffd
	v_cndmask_b32_e32 v14, 0x7c00, v14, vcc_lo
	v_cmp_gt_i32_e32 vcc_lo, 1, v17
	v_mul_f64_e32 v[8:9], s[8:9], v[8:9]
	s_wait_alu 0xfffd
	v_cndmask_b32_e32 v19, v21, v19, vcc_lo
	v_cmp_eq_u32_e32 vcc_lo, 0x40f, v15
	v_lshrrev_b32_e32 v15, 8, v7
	v_bfe_u32 v21, v7, 20, 11
	v_lshrrev_b32_e32 v7, 16, v7
	s_wait_alu 0xfffd
	v_cndmask_b32_e32 v10, v14, v10, vcc_lo
	v_cmp_ne_u32_e32 vcc_lo, 0, v6
	v_and_b32_e32 v14, 7, v19
	s_delay_alu instid0(VALU_DEP_3)
	v_and_or_b32 v10, 0x8000, v11, v10
	v_and_b32_e32 v11, 0xffff, v20
	s_wait_alu 0xfffd
	v_cndmask_b32_e64 v6, 0, 1, vcc_lo
	v_cmp_lt_i32_e32 vcc_lo, 5, v14
	v_cmp_eq_u32_e64 s0, 3, v14
	v_lshl_or_b32 v10, v10, 16, v11
	v_lshrrev_b32_e32 v11, 2, v19
	v_and_or_b32 v6, 0xffe, v15, v6
	v_sub_nc_u32_e32 v15, 0x3f1, v21
	s_or_b32 vcc_lo, s0, vcc_lo
	v_and_or_b32 v12, 0x1ff, v13, v12
	s_wait_alu 0xfffe
	v_add_co_ci_u32_e32 v11, vcc_lo, 0, v11, vcc_lo
	v_or_b32_e32 v14, 0x1000, v6
	v_med3_i32 v15, v15, 0, 13
	v_cmp_ne_u32_e32 vcc_lo, 0, v2
	v_lshrrev_b32_e32 v20, 8, v13
	v_bfe_u32 v22, v13, 20, 11
	s_delay_alu instid0(VALU_DEP_4) | instskip(SKIP_3) | instid1(VALU_DEP_3)
	v_lshrrev_b32_e32 v19, v15, v14
	s_wait_alu 0xfffd
	v_cndmask_b32_e64 v2, 0, 1, vcc_lo
	v_cmp_gt_i32_e32 vcc_lo, 31, v17
	v_lshlrev_b32_e32 v15, v15, v19
	s_delay_alu instid0(VALU_DEP_3)
	v_lshl_or_b32 v2, v2, 9, 0x7c00
	s_wait_alu 0xfffd
	v_cndmask_b32_e32 v11, 0x7c00, v11, vcc_lo
	v_cmp_ne_u32_e32 vcc_lo, 0, v12
	v_and_or_b32 v8, 0x1ff, v9, v8
	s_wait_alu 0xfffd
	v_cndmask_b32_e64 v12, 0, 1, vcc_lo
	v_cmp_ne_u32_e32 vcc_lo, v15, v14
	v_add_nc_u32_e32 v15, 0xfffffc10, v21
	v_bfe_u32 v21, v9, 20, 11
	s_delay_alu instid0(VALU_DEP_4)
	v_and_or_b32 v12, 0xffe, v20, v12
	s_wait_alu 0xfffd
	v_cndmask_b32_e64 v14, 0, 1, vcc_lo
	v_sub_nc_u32_e32 v20, 0x3f1, v22
	v_cmp_eq_u32_e32 vcc_lo, 0x40f, v17
	v_or_b32_e32 v17, 0x1000, v12
	s_wait_alu 0xfffd
	v_cndmask_b32_e32 v2, v11, v2, vcc_lo
	v_or_b32_e32 v11, v19, v14
	v_lshl_or_b32 v14, v15, 12, v6
	v_med3_i32 v19, v20, 0, 13
	v_cmp_gt_i32_e32 vcc_lo, 1, v15
	v_lshrrev_b32_e32 v20, 8, v9
	v_and_or_b32 v2, 0x8000, v3, v2
	v_lshrrev_b32_e32 v9, 16, v9
	s_wait_alu 0xfffd
	v_cndmask_b32_e32 v11, v14, v11, vcc_lo
	v_lshrrev_b32_e32 v14, v19, v17
	v_cmp_ne_u32_e32 vcc_lo, 0, v8
	s_delay_alu instid0(VALU_DEP_3) | instskip(NEXT) | instid1(VALU_DEP_3)
	v_and_b32_e32 v23, 7, v11
	v_lshlrev_b32_e32 v19, v19, v14
	s_wait_alu 0xfffd
	v_cndmask_b32_e64 v8, 0, 1, vcc_lo
	v_lshrrev_b32_e32 v11, 2, v11
	v_cmp_lt_i32_e32 vcc_lo, 5, v23
	v_cmp_ne_u32_e64 s0, v19, v17
	s_delay_alu instid0(VALU_DEP_4)
	v_and_or_b32 v3, 0xffe, v20, v8
	v_sub_nc_u32_e32 v8, 0x3f1, v21
	v_add_nc_u32_e32 v20, 0xfffffc10, v22
	s_wait_alu 0xf1ff
	v_cndmask_b32_e64 v17, 0, 1, s0
	v_cmp_eq_u32_e64 s0, 3, v23
	v_or_b32_e32 v19, 0x1000, v3
	v_med3_i32 v8, v8, 0, 13
	v_lshl_or_b32 v22, v20, 12, v12
	v_or_b32_e32 v14, v14, v17
	s_or_b32 vcc_lo, s0, vcc_lo
	s_wait_alu 0xfffe
	v_add_co_ci_u32_e32 v11, vcc_lo, 0, v11, vcc_lo
	v_lshrrev_b32_e32 v17, v8, v19
	v_cmp_gt_i32_e32 vcc_lo, 1, v20
	s_delay_alu instid0(VALU_DEP_2)
	v_lshlrev_b32_e32 v8, v8, v17
	s_wait_alu 0xfffd
	v_cndmask_b32_e32 v14, v22, v14, vcc_lo
	v_cmp_ne_u32_e32 vcc_lo, 0, v6
	s_wait_alu 0xfffd
	v_cndmask_b32_e64 v6, 0, 1, vcc_lo
	v_cmp_ne_u32_e32 vcc_lo, v8, v19
	v_add_nc_u32_e32 v19, 0xfffffc10, v21
	v_and_b32_e32 v21, 7, v14
	s_delay_alu instid0(VALU_DEP_4)
	v_lshl_or_b32 v6, v6, 9, 0x7c00
	s_wait_alu 0xfffd
	v_cndmask_b32_e64 v8, 0, 1, vcc_lo
	v_cmp_gt_i32_e32 vcc_lo, 31, v15
	v_cmp_gt_i32_e64 s1, 1, v19
	v_cmp_eq_u32_e64 s0, 3, v21
	s_delay_alu instid0(VALU_DEP_4)
	v_or_b32_e32 v8, v17, v8
	v_lshl_or_b32 v17, v19, 12, v3
	s_wait_alu 0xfffd
	v_cndmask_b32_e32 v11, 0x7c00, v11, vcc_lo
	v_cmp_lt_i32_e32 vcc_lo, 5, v21
	s_wait_alu 0xf1ff
	v_cndmask_b32_e64 v8, v17, v8, s1
	v_cmp_eq_u32_e64 s1, 0x40f, v15
	s_or_b32 vcc_lo, s0, vcc_lo
	s_delay_alu instid0(VALU_DEP_1)
	v_cndmask_b32_e64 v6, v11, v6, s1
	v_lshrrev_b32_e32 v11, 2, v14
	v_and_b32_e32 v14, 7, v8
	v_lshrrev_b32_e32 v8, 2, v8
	v_cmp_gt_i32_e64 s1, 31, v20
	v_and_or_b32 v6, 0x8000, v7, v6
	s_wait_alu 0xfffe
	v_add_co_ci_u32_e32 v11, vcc_lo, 0, v11, vcc_lo
	v_cmp_ne_u32_e32 vcc_lo, 0, v12
	v_cmp_eq_u32_e64 s0, 3, v14
	s_wait_alu 0xf1ff
	s_delay_alu instid0(VALU_DEP_3) | instskip(SKIP_3) | instid1(VALU_DEP_2)
	v_cndmask_b32_e64 v11, 0x7c00, v11, s1
	s_wait_alu 0xfffd
	v_cndmask_b32_e64 v12, 0, 1, vcc_lo
	v_cmp_lt_i32_e32 vcc_lo, 5, v14
	v_lshl_or_b32 v12, v12, 9, 0x7c00
	s_or_b32 vcc_lo, s0, vcc_lo
	s_wait_alu 0xfffe
	v_add_co_ci_u32_e32 v8, vcc_lo, 0, v8, vcc_lo
	v_cmp_ne_u32_e32 vcc_lo, 0, v3
	s_wait_alu 0xfffd
	v_cndmask_b32_e64 v3, 0, 1, vcc_lo
	v_cmp_eq_u32_e32 vcc_lo, 0x40f, v20
	s_delay_alu instid0(VALU_DEP_2)
	v_lshl_or_b32 v3, v3, 9, 0x7c00
	s_wait_alu 0xfffd
	v_cndmask_b32_e32 v11, v11, v12, vcc_lo
	v_cmp_gt_i32_e32 vcc_lo, 31, v19
	v_lshrrev_b32_e32 v12, 16, v13
	s_wait_alu 0xfffd
	v_cndmask_b32_e32 v8, 0x7c00, v8, vcc_lo
	v_cmp_eq_u32_e32 vcc_lo, 0x40f, v19
	v_and_b32_e32 v7, 0xffff, v2
	v_and_or_b32 v11, 0x8000, v12, v11
	s_wait_alu 0xfffd
	v_cndmask_b32_e32 v8, v8, v3, vcc_lo
	v_add_co_u32 v2, vcc_lo, v4, s2
	s_wait_alu 0xfffd
	v_add_co_ci_u32_e32 v3, vcc_lo, s3, v5, vcc_lo
	v_lshl_or_b32 v12, v6, 16, v7
	v_and_or_b32 v8, 0x8000, v9, v8
	v_and_b32_e32 v9, 0xffff, v11
	v_add_co_u32 v6, vcc_lo, v2, s4
	s_wait_alu 0xfffd
	v_add_co_ci_u32_e32 v7, vcc_lo, s5, v3, vcc_lo
	s_delay_alu instid0(VALU_DEP_3) | instskip(NEXT) | instid1(VALU_DEP_3)
	v_lshl_or_b32 v11, v8, 16, v9
	v_add_co_u32 v8, vcc_lo, v6, s2
	s_wait_alu 0xfffd
	s_delay_alu instid0(VALU_DEP_3)
	v_add_co_ci_u32_e32 v9, vcc_lo, s3, v7, vcc_lo
	global_store_b32 v[0:1], v18, off
	global_store_b32 v[4:5], v16, off
	;; [unrolled: 1-line block ×5, first 2 shown]
.LBB0_26:
	s_nop 0
	s_sendmsg sendmsg(MSG_DEALLOC_VGPRS)
	s_endpgm
	.section	.rodata,"a",@progbits
	.p2align	6, 0x0
	.amdhsa_kernel bluestein_single_back_len1260_dim1_half_op_CI_CI
		.amdhsa_group_segment_fixed_size 5040
		.amdhsa_private_segment_fixed_size 8
		.amdhsa_kernarg_size 104
		.amdhsa_user_sgpr_count 2
		.amdhsa_user_sgpr_dispatch_ptr 0
		.amdhsa_user_sgpr_queue_ptr 0
		.amdhsa_user_sgpr_kernarg_segment_ptr 1
		.amdhsa_user_sgpr_dispatch_id 0
		.amdhsa_user_sgpr_private_segment_size 0
		.amdhsa_wavefront_size32 1
		.amdhsa_uses_dynamic_stack 0
		.amdhsa_enable_private_segment 1
		.amdhsa_system_sgpr_workgroup_id_x 1
		.amdhsa_system_sgpr_workgroup_id_y 0
		.amdhsa_system_sgpr_workgroup_id_z 0
		.amdhsa_system_sgpr_workgroup_info 0
		.amdhsa_system_vgpr_workitem_id 0
		.amdhsa_next_free_vgpr 256
		.amdhsa_next_free_sgpr 20
		.amdhsa_reserve_vcc 1
		.amdhsa_float_round_mode_32 0
		.amdhsa_float_round_mode_16_64 0
		.amdhsa_float_denorm_mode_32 3
		.amdhsa_float_denorm_mode_16_64 3
		.amdhsa_fp16_overflow 0
		.amdhsa_workgroup_processor_mode 1
		.amdhsa_memory_ordered 1
		.amdhsa_forward_progress 0
		.amdhsa_round_robin_scheduling 0
		.amdhsa_exception_fp_ieee_invalid_op 0
		.amdhsa_exception_fp_denorm_src 0
		.amdhsa_exception_fp_ieee_div_zero 0
		.amdhsa_exception_fp_ieee_overflow 0
		.amdhsa_exception_fp_ieee_underflow 0
		.amdhsa_exception_fp_ieee_inexact 0
		.amdhsa_exception_int_div_zero 0
	.end_amdhsa_kernel
	.text
.Lfunc_end0:
	.size	bluestein_single_back_len1260_dim1_half_op_CI_CI, .Lfunc_end0-bluestein_single_back_len1260_dim1_half_op_CI_CI
                                        ; -- End function
	.section	.AMDGPU.csdata,"",@progbits
; Kernel info:
; codeLenInByte = 39072
; NumSgprs: 22
; NumVgprs: 256
; ScratchSize: 8
; MemoryBound: 0
; FloatMode: 240
; IeeeMode: 1
; LDSByteSize: 5040 bytes/workgroup (compile time only)
; SGPRBlocks: 2
; VGPRBlocks: 31
; NumSGPRsForWavesPerEU: 22
; NumVGPRsForWavesPerEU: 256
; Occupancy: 5
; WaveLimiterHint : 1
; COMPUTE_PGM_RSRC2:SCRATCH_EN: 1
; COMPUTE_PGM_RSRC2:USER_SGPR: 2
; COMPUTE_PGM_RSRC2:TRAP_HANDLER: 0
; COMPUTE_PGM_RSRC2:TGID_X_EN: 1
; COMPUTE_PGM_RSRC2:TGID_Y_EN: 0
; COMPUTE_PGM_RSRC2:TGID_Z_EN: 0
; COMPUTE_PGM_RSRC2:TIDIG_COMP_CNT: 0
	.text
	.p2alignl 7, 3214868480
	.fill 96, 4, 3214868480
	.type	__hip_cuid_ad055869ff7534b8,@object ; @__hip_cuid_ad055869ff7534b8
	.section	.bss,"aw",@nobits
	.globl	__hip_cuid_ad055869ff7534b8
__hip_cuid_ad055869ff7534b8:
	.byte	0                               ; 0x0
	.size	__hip_cuid_ad055869ff7534b8, 1

	.ident	"AMD clang version 19.0.0git (https://github.com/RadeonOpenCompute/llvm-project roc-6.4.0 25133 c7fe45cf4b819c5991fe208aaa96edf142730f1d)"
	.section	".note.GNU-stack","",@progbits
	.addrsig
	.addrsig_sym __hip_cuid_ad055869ff7534b8
	.amdgpu_metadata
---
amdhsa.kernels:
  - .args:
      - .actual_access:  read_only
        .address_space:  global
        .offset:         0
        .size:           8
        .value_kind:     global_buffer
      - .actual_access:  read_only
        .address_space:  global
        .offset:         8
        .size:           8
        .value_kind:     global_buffer
      - .actual_access:  read_only
        .address_space:  global
        .offset:         16
        .size:           8
        .value_kind:     global_buffer
      - .actual_access:  read_only
        .address_space:  global
        .offset:         24
        .size:           8
        .value_kind:     global_buffer
      - .actual_access:  read_only
        .address_space:  global
        .offset:         32
        .size:           8
        .value_kind:     global_buffer
      - .offset:         40
        .size:           8
        .value_kind:     by_value
      - .address_space:  global
        .offset:         48
        .size:           8
        .value_kind:     global_buffer
      - .address_space:  global
        .offset:         56
        .size:           8
        .value_kind:     global_buffer
      - .address_space:  global
        .offset:         64
        .size:           8
        .value_kind:     global_buffer
      - .address_space:  global
        .offset:         72
        .size:           8
        .value_kind:     global_buffer
      - .offset:         80
        .size:           4
        .value_kind:     by_value
      - .address_space:  global
        .offset:         88
        .size:           8
        .value_kind:     global_buffer
      - .address_space:  global
        .offset:         96
        .size:           8
        .value_kind:     global_buffer
    .group_segment_fixed_size: 5040
    .kernarg_segment_align: 8
    .kernarg_segment_size: 104
    .language:       OpenCL C
    .language_version:
      - 2
      - 0
    .max_flat_workgroup_size: 63
    .name:           bluestein_single_back_len1260_dim1_half_op_CI_CI
    .private_segment_fixed_size: 8
    .sgpr_count:     22
    .sgpr_spill_count: 0
    .symbol:         bluestein_single_back_len1260_dim1_half_op_CI_CI.kd
    .uniform_work_group_size: 1
    .uses_dynamic_stack: false
    .vgpr_count:     256
    .vgpr_spill_count: 1
    .wavefront_size: 32
    .workgroup_processor_mode: 1
amdhsa.target:   amdgcn-amd-amdhsa--gfx1201
amdhsa.version:
  - 1
  - 2
...

	.end_amdgpu_metadata
